;; amdgpu-corpus repo=ROCm/rocFFT kind=compiled arch=gfx1100 opt=O3
	.text
	.amdgcn_target "amdgcn-amd-amdhsa--gfx1100"
	.amdhsa_code_object_version 6
	.protected	fft_rtc_back_len1352_factors_2_13_13_4_wgs_52_tpt_52_halfLds_dp_op_CI_CI_sbrr_dirReg ; -- Begin function fft_rtc_back_len1352_factors_2_13_13_4_wgs_52_tpt_52_halfLds_dp_op_CI_CI_sbrr_dirReg
	.globl	fft_rtc_back_len1352_factors_2_13_13_4_wgs_52_tpt_52_halfLds_dp_op_CI_CI_sbrr_dirReg
	.p2align	8
	.type	fft_rtc_back_len1352_factors_2_13_13_4_wgs_52_tpt_52_halfLds_dp_op_CI_CI_sbrr_dirReg,@function
fft_rtc_back_len1352_factors_2_13_13_4_wgs_52_tpt_52_halfLds_dp_op_CI_CI_sbrr_dirReg: ; @fft_rtc_back_len1352_factors_2_13_13_4_wgs_52_tpt_52_halfLds_dp_op_CI_CI_sbrr_dirReg
; %bb.0:
	s_clause 0x2
	s_load_b128 s[16:19], s[0:1], 0x18
	s_load_b128 s[4:7], s[0:1], 0x0
	;; [unrolled: 1-line block ×3, first 2 shown]
	v_mul_u32_u24_e32 v1, 0x4ed, v0
	v_mov_b32_e32 v4, 0
	v_mov_b32_e32 v5, 0
	s_waitcnt lgkmcnt(0)
	s_load_b64 s[20:21], s[16:17], 0x0
	s_load_b64 s[12:13], s[18:19], 0x0
	v_lshrrev_b32_e32 v2, 16, v1
	v_mov_b32_e32 v1, 0
	v_cmp_lt_u64_e64 s2, s[6:7], 2
	s_delay_alu instid0(VALU_DEP_2) | instskip(NEXT) | instid1(VALU_DEP_2)
	v_dual_mov_b32 v7, v1 :: v_dual_add_nc_u32 v6, s15, v2
	s_and_b32 vcc_lo, exec_lo, s2
	s_cbranch_vccnz .LBB0_8
; %bb.1:
	s_load_b64 s[2:3], s[0:1], 0x10
	v_mov_b32_e32 v4, 0
	v_mov_b32_e32 v5, 0
	s_add_u32 s14, s18, 8
	s_addc_u32 s15, s19, 0
	s_add_u32 s22, s16, 8
	s_addc_u32 s23, s17, 0
	v_dual_mov_b32 v145, v5 :: v_dual_mov_b32 v144, v4
	s_mov_b64 s[26:27], 1
	s_waitcnt lgkmcnt(0)
	s_add_u32 s24, s2, 8
	s_addc_u32 s25, s3, 0
.LBB0_2:                                ; =>This Inner Loop Header: Depth=1
	s_load_b64 s[28:29], s[24:25], 0x0
                                        ; implicit-def: $vgpr196_vgpr197
	s_mov_b32 s2, exec_lo
	s_waitcnt lgkmcnt(0)
	v_or_b32_e32 v2, s29, v7
	s_delay_alu instid0(VALU_DEP_1)
	v_cmpx_ne_u64_e32 0, v[1:2]
	s_xor_b32 s3, exec_lo, s2
	s_cbranch_execz .LBB0_4
; %bb.3:                                ;   in Loop: Header=BB0_2 Depth=1
	v_cvt_f32_u32_e32 v2, s28
	v_cvt_f32_u32_e32 v3, s29
	s_sub_u32 s2, 0, s28
	s_subb_u32 s30, 0, s29
	s_delay_alu instid0(VALU_DEP_1) | instskip(NEXT) | instid1(VALU_DEP_1)
	v_fmac_f32_e32 v2, 0x4f800000, v3
	v_rcp_f32_e32 v2, v2
	s_waitcnt_depctr 0xfff
	v_mul_f32_e32 v2, 0x5f7ffffc, v2
	s_delay_alu instid0(VALU_DEP_1) | instskip(NEXT) | instid1(VALU_DEP_1)
	v_mul_f32_e32 v3, 0x2f800000, v2
	v_trunc_f32_e32 v3, v3
	s_delay_alu instid0(VALU_DEP_1) | instskip(SKIP_1) | instid1(VALU_DEP_2)
	v_fmac_f32_e32 v2, 0xcf800000, v3
	v_cvt_u32_f32_e32 v3, v3
	v_cvt_u32_f32_e32 v2, v2
	s_delay_alu instid0(VALU_DEP_2) | instskip(NEXT) | instid1(VALU_DEP_2)
	v_mul_lo_u32 v8, s2, v3
	v_mul_hi_u32 v9, s2, v2
	v_mul_lo_u32 v10, s30, v2
	s_delay_alu instid0(VALU_DEP_2) | instskip(SKIP_1) | instid1(VALU_DEP_2)
	v_add_nc_u32_e32 v8, v9, v8
	v_mul_lo_u32 v9, s2, v2
	v_add_nc_u32_e32 v8, v8, v10
	s_delay_alu instid0(VALU_DEP_2) | instskip(NEXT) | instid1(VALU_DEP_2)
	v_mul_hi_u32 v10, v2, v9
	v_mul_lo_u32 v11, v2, v8
	v_mul_hi_u32 v12, v2, v8
	v_mul_hi_u32 v13, v3, v9
	v_mul_lo_u32 v9, v3, v9
	v_mul_hi_u32 v14, v3, v8
	v_mul_lo_u32 v8, v3, v8
	v_add_co_u32 v10, vcc_lo, v10, v11
	v_add_co_ci_u32_e32 v11, vcc_lo, 0, v12, vcc_lo
	s_delay_alu instid0(VALU_DEP_2) | instskip(NEXT) | instid1(VALU_DEP_2)
	v_add_co_u32 v9, vcc_lo, v10, v9
	v_add_co_ci_u32_e32 v9, vcc_lo, v11, v13, vcc_lo
	v_add_co_ci_u32_e32 v10, vcc_lo, 0, v14, vcc_lo
	s_delay_alu instid0(VALU_DEP_2) | instskip(NEXT) | instid1(VALU_DEP_2)
	v_add_co_u32 v8, vcc_lo, v9, v8
	v_add_co_ci_u32_e32 v9, vcc_lo, 0, v10, vcc_lo
	s_delay_alu instid0(VALU_DEP_2) | instskip(NEXT) | instid1(VALU_DEP_2)
	v_add_co_u32 v2, vcc_lo, v2, v8
	v_add_co_ci_u32_e32 v3, vcc_lo, v3, v9, vcc_lo
	s_delay_alu instid0(VALU_DEP_2) | instskip(SKIP_1) | instid1(VALU_DEP_3)
	v_mul_hi_u32 v8, s2, v2
	v_mul_lo_u32 v10, s30, v2
	v_mul_lo_u32 v9, s2, v3
	s_delay_alu instid0(VALU_DEP_1) | instskip(SKIP_1) | instid1(VALU_DEP_2)
	v_add_nc_u32_e32 v8, v8, v9
	v_mul_lo_u32 v9, s2, v2
	v_add_nc_u32_e32 v8, v8, v10
	s_delay_alu instid0(VALU_DEP_2) | instskip(NEXT) | instid1(VALU_DEP_2)
	v_mul_hi_u32 v10, v2, v9
	v_mul_lo_u32 v11, v2, v8
	v_mul_hi_u32 v12, v2, v8
	v_mul_hi_u32 v13, v3, v9
	v_mul_lo_u32 v9, v3, v9
	v_mul_hi_u32 v14, v3, v8
	v_mul_lo_u32 v8, v3, v8
	v_add_co_u32 v10, vcc_lo, v10, v11
	v_add_co_ci_u32_e32 v11, vcc_lo, 0, v12, vcc_lo
	s_delay_alu instid0(VALU_DEP_2) | instskip(NEXT) | instid1(VALU_DEP_2)
	v_add_co_u32 v9, vcc_lo, v10, v9
	v_add_co_ci_u32_e32 v9, vcc_lo, v11, v13, vcc_lo
	v_add_co_ci_u32_e32 v10, vcc_lo, 0, v14, vcc_lo
	s_delay_alu instid0(VALU_DEP_2) | instskip(NEXT) | instid1(VALU_DEP_2)
	v_add_co_u32 v8, vcc_lo, v9, v8
	v_add_co_ci_u32_e32 v9, vcc_lo, 0, v10, vcc_lo
	s_delay_alu instid0(VALU_DEP_2) | instskip(NEXT) | instid1(VALU_DEP_2)
	v_add_co_u32 v10, vcc_lo, v2, v8
	v_add_co_ci_u32_e32 v12, vcc_lo, v3, v9, vcc_lo
	s_delay_alu instid0(VALU_DEP_2) | instskip(SKIP_1) | instid1(VALU_DEP_3)
	v_mul_hi_u32 v13, v6, v10
	v_mad_u64_u32 v[8:9], null, v7, v10, 0
	v_mad_u64_u32 v[2:3], null, v6, v12, 0
	;; [unrolled: 1-line block ×3, first 2 shown]
	s_delay_alu instid0(VALU_DEP_2) | instskip(NEXT) | instid1(VALU_DEP_3)
	v_add_co_u32 v2, vcc_lo, v13, v2
	v_add_co_ci_u32_e32 v3, vcc_lo, 0, v3, vcc_lo
	s_delay_alu instid0(VALU_DEP_2) | instskip(NEXT) | instid1(VALU_DEP_2)
	v_add_co_u32 v2, vcc_lo, v2, v8
	v_add_co_ci_u32_e32 v2, vcc_lo, v3, v9, vcc_lo
	v_add_co_ci_u32_e32 v3, vcc_lo, 0, v11, vcc_lo
	s_delay_alu instid0(VALU_DEP_2) | instskip(NEXT) | instid1(VALU_DEP_2)
	v_add_co_u32 v8, vcc_lo, v2, v10
	v_add_co_ci_u32_e32 v9, vcc_lo, 0, v3, vcc_lo
	s_delay_alu instid0(VALU_DEP_2) | instskip(SKIP_1) | instid1(VALU_DEP_3)
	v_mul_lo_u32 v10, s29, v8
	v_mad_u64_u32 v[2:3], null, s28, v8, 0
	v_mul_lo_u32 v11, s28, v9
	s_delay_alu instid0(VALU_DEP_2) | instskip(NEXT) | instid1(VALU_DEP_2)
	v_sub_co_u32 v2, vcc_lo, v6, v2
	v_add3_u32 v3, v3, v11, v10
	s_delay_alu instid0(VALU_DEP_1) | instskip(NEXT) | instid1(VALU_DEP_1)
	v_sub_nc_u32_e32 v10, v7, v3
	v_subrev_co_ci_u32_e64 v10, s2, s29, v10, vcc_lo
	v_add_co_u32 v11, s2, v8, 2
	s_delay_alu instid0(VALU_DEP_1) | instskip(SKIP_3) | instid1(VALU_DEP_3)
	v_add_co_ci_u32_e64 v12, s2, 0, v9, s2
	v_sub_co_u32 v13, s2, v2, s28
	v_sub_co_ci_u32_e32 v3, vcc_lo, v7, v3, vcc_lo
	v_subrev_co_ci_u32_e64 v10, s2, 0, v10, s2
	v_cmp_le_u32_e32 vcc_lo, s28, v13
	s_delay_alu instid0(VALU_DEP_3) | instskip(SKIP_1) | instid1(VALU_DEP_4)
	v_cmp_eq_u32_e64 s2, s29, v3
	v_cndmask_b32_e64 v13, 0, -1, vcc_lo
	v_cmp_le_u32_e32 vcc_lo, s29, v10
	v_cndmask_b32_e64 v14, 0, -1, vcc_lo
	v_cmp_le_u32_e32 vcc_lo, s28, v2
	;; [unrolled: 2-line block ×3, first 2 shown]
	v_cndmask_b32_e64 v15, 0, -1, vcc_lo
	v_cmp_eq_u32_e32 vcc_lo, s29, v10
	s_delay_alu instid0(VALU_DEP_2) | instskip(SKIP_3) | instid1(VALU_DEP_3)
	v_cndmask_b32_e64 v2, v15, v2, s2
	v_cndmask_b32_e32 v10, v14, v13, vcc_lo
	v_add_co_u32 v13, vcc_lo, v8, 1
	v_add_co_ci_u32_e32 v14, vcc_lo, 0, v9, vcc_lo
	v_cmp_ne_u32_e32 vcc_lo, 0, v10
	s_delay_alu instid0(VALU_DEP_2) | instskip(SKIP_1) | instid1(VALU_DEP_2)
	v_dual_cndmask_b32 v3, v14, v12 :: v_dual_cndmask_b32 v10, v13, v11
	v_cmp_ne_u32_e32 vcc_lo, 0, v2
	v_dual_cndmask_b32 v197, v9, v3 :: v_dual_cndmask_b32 v196, v8, v10
.LBB0_4:                                ;   in Loop: Header=BB0_2 Depth=1
	s_and_not1_saveexec_b32 s2, s3
	s_cbranch_execz .LBB0_6
; %bb.5:                                ;   in Loop: Header=BB0_2 Depth=1
	v_cvt_f32_u32_e32 v2, s28
	s_sub_i32 s3, 0, s28
	v_mov_b32_e32 v197, v1
	s_delay_alu instid0(VALU_DEP_2) | instskip(SKIP_2) | instid1(VALU_DEP_1)
	v_rcp_iflag_f32_e32 v2, v2
	s_waitcnt_depctr 0xfff
	v_mul_f32_e32 v2, 0x4f7ffffe, v2
	v_cvt_u32_f32_e32 v2, v2
	s_delay_alu instid0(VALU_DEP_1) | instskip(NEXT) | instid1(VALU_DEP_1)
	v_mul_lo_u32 v3, s3, v2
	v_mul_hi_u32 v3, v2, v3
	s_delay_alu instid0(VALU_DEP_1) | instskip(NEXT) | instid1(VALU_DEP_1)
	v_add_nc_u32_e32 v2, v2, v3
	v_mul_hi_u32 v2, v6, v2
	s_delay_alu instid0(VALU_DEP_1) | instskip(SKIP_1) | instid1(VALU_DEP_2)
	v_mul_lo_u32 v3, v2, s28
	v_add_nc_u32_e32 v8, 1, v2
	v_sub_nc_u32_e32 v3, v6, v3
	s_delay_alu instid0(VALU_DEP_1) | instskip(SKIP_1) | instid1(VALU_DEP_2)
	v_subrev_nc_u32_e32 v9, s28, v3
	v_cmp_le_u32_e32 vcc_lo, s28, v3
	v_dual_cndmask_b32 v3, v3, v9 :: v_dual_cndmask_b32 v2, v2, v8
	s_delay_alu instid0(VALU_DEP_1) | instskip(NEXT) | instid1(VALU_DEP_2)
	v_cmp_le_u32_e32 vcc_lo, s28, v3
	v_add_nc_u32_e32 v8, 1, v2
	s_delay_alu instid0(VALU_DEP_1)
	v_cndmask_b32_e32 v196, v2, v8, vcc_lo
.LBB0_6:                                ;   in Loop: Header=BB0_2 Depth=1
	s_or_b32 exec_lo, exec_lo, s2
	s_delay_alu instid0(VALU_DEP_1) | instskip(NEXT) | instid1(VALU_DEP_2)
	v_mul_lo_u32 v8, v197, s28
	v_mul_lo_u32 v9, v196, s29
	s_load_b64 s[2:3], s[22:23], 0x0
	v_mad_u64_u32 v[2:3], null, v196, s28, 0
	s_load_b64 s[28:29], s[14:15], 0x0
	s_add_u32 s26, s26, 1
	s_addc_u32 s27, s27, 0
	s_add_u32 s14, s14, 8
	s_addc_u32 s15, s15, 0
	s_add_u32 s22, s22, 8
	s_delay_alu instid0(VALU_DEP_1) | instskip(SKIP_3) | instid1(VALU_DEP_2)
	v_add3_u32 v3, v3, v9, v8
	v_sub_co_u32 v8, vcc_lo, v6, v2
	s_addc_u32 s23, s23, 0
	s_add_u32 s24, s24, 8
	v_sub_co_ci_u32_e32 v6, vcc_lo, v7, v3, vcc_lo
	s_addc_u32 s25, s25, 0
	s_waitcnt lgkmcnt(0)
	s_delay_alu instid0(VALU_DEP_1)
	v_mul_lo_u32 v9, s2, v6
	v_mul_lo_u32 v10, s3, v8
	v_mad_u64_u32 v[2:3], null, s2, v8, v[4:5]
	v_mul_lo_u32 v11, s28, v6
	v_mul_lo_u32 v12, s29, v8
	v_mad_u64_u32 v[6:7], null, s28, v8, v[144:145]
	v_cmp_ge_u64_e64 s2, s[26:27], s[6:7]
	v_add3_u32 v5, v10, v3, v9
	v_mov_b32_e32 v4, v2
	s_delay_alu instid0(VALU_DEP_4)
	v_add3_u32 v145, v12, v7, v11
	v_mov_b32_e32 v144, v6
	s_and_b32 vcc_lo, exec_lo, s2
	s_cbranch_vccnz .LBB0_9
; %bb.7:                                ;   in Loop: Header=BB0_2 Depth=1
	v_dual_mov_b32 v6, v196 :: v_dual_mov_b32 v7, v197
	s_branch .LBB0_2
.LBB0_8:
	v_dual_mov_b32 v145, v5 :: v_dual_mov_b32 v144, v4
	s_delay_alu instid0(VALU_DEP_2)
	v_dual_mov_b32 v197, v7 :: v_dual_mov_b32 v196, v6
.LBB0_9:
	s_load_b64 s[0:1], s[0:1], 0x28
	v_mul_hi_u32 v1, 0x4ec4ec5, v0
	s_lshl_b64 s[6:7], s[6:7], 3
                                        ; implicit-def: $vgpr208
                                        ; implicit-def: $vgpr198
                                        ; implicit-def: $vgpr147
                                        ; implicit-def: $vgpr111
                                        ; implicit-def: $vgpr160
                                        ; implicit-def: $vgpr112
                                        ; implicit-def: $vgpr161
                                        ; implicit-def: $vgpr104
                                        ; implicit-def: $vgpr105
                                        ; implicit-def: $vgpr106
	s_delay_alu instid0(SALU_CYCLE_1) | instskip(SKIP_4) | instid1(VALU_DEP_1)
	s_add_u32 s2, s18, s6
	s_addc_u32 s3, s19, s7
	s_waitcnt lgkmcnt(0)
	v_cmp_gt_u64_e32 vcc_lo, s[0:1], v[196:197]
	v_cmp_le_u64_e64 s0, s[0:1], v[196:197]
	s_and_saveexec_b32 s1, s0
	s_delay_alu instid0(SALU_CYCLE_1)
	s_xor_b32 s0, exec_lo, s1
; %bb.10:
	v_mul_u32_u24_e32 v1, 52, v1
                                        ; implicit-def: $vgpr4_vgpr5
	s_delay_alu instid0(VALU_DEP_1) | instskip(NEXT) | instid1(VALU_DEP_1)
	v_sub_nc_u32_e32 v208, v0, v1
                                        ; implicit-def: $vgpr1
                                        ; implicit-def: $vgpr0
	v_add_nc_u32_e32 v198, 52, v208
	v_add_nc_u32_e32 v147, 0x68, v208
	;; [unrolled: 1-line block ×9, first 2 shown]
; %bb.11:
	s_or_saveexec_b32 s1, s0
                                        ; implicit-def: $vgpr26_vgpr27
                                        ; implicit-def: $vgpr2_vgpr3
                                        ; implicit-def: $vgpr18_vgpr19
                                        ; implicit-def: $vgpr10_vgpr11
                                        ; implicit-def: $vgpr70_vgpr71
                                        ; implicit-def: $vgpr34_vgpr35
                                        ; implicit-def: $vgpr74_vgpr75
                                        ; implicit-def: $vgpr42_vgpr43
                                        ; implicit-def: $vgpr78_vgpr79
                                        ; implicit-def: $vgpr46_vgpr47
                                        ; implicit-def: $vgpr86_vgpr87
                                        ; implicit-def: $vgpr50_vgpr51
                                        ; implicit-def: $vgpr94_vgpr95
                                        ; implicit-def: $vgpr54_vgpr55
                                        ; implicit-def: $vgpr90_vgpr91
                                        ; implicit-def: $vgpr62_vgpr63
                                        ; implicit-def: $vgpr98_vgpr99
                                        ; implicit-def: $vgpr58_vgpr59
                                        ; implicit-def: $vgpr102_vgpr103
                                        ; implicit-def: $vgpr66_vgpr67
                                        ; implicit-def: $vgpr82_vgpr83
                                        ; implicit-def: $vgpr38_vgpr39
                                        ; implicit-def: $vgpr22_vgpr23
                                        ; implicit-def: $vgpr14_vgpr15
                                        ; implicit-def: $vgpr30_vgpr31
                                        ; implicit-def: $vgpr6_vgpr7
	s_delay_alu instid0(SALU_CYCLE_1)
	s_xor_b32 exec_lo, exec_lo, s1
	s_cbranch_execz .LBB0_13
; %bb.12:
	v_mul_u32_u24_e32 v1, 52, v1
	s_add_u32 s6, s16, s6
	s_addc_u32 s7, s17, s7
	v_lshlrev_b64 v[4:5], 4, v[4:5]
	s_load_b64 s[6:7], s[6:7], 0x0
	v_sub_nc_u32_e32 v208, v0, v1
	s_delay_alu instid0(VALU_DEP_1) | instskip(SKIP_3) | instid1(VALU_DEP_4)
	v_add_nc_u32_e32 v15, 0x2a4, v208
	v_mad_u64_u32 v[0:1], null, s20, v208, 0
	v_add_nc_u32_e32 v147, 0x68, v208
	v_or_b32_e32 v21, 0x340, v208
	v_mad_u64_u32 v[2:3], null, s20, v15, 0
	v_add_nc_u32_e32 v198, 52, v208
	v_add_nc_u32_e32 v55, 0x16c, v208
	s_delay_alu instid0(VALU_DEP_4)
	v_mad_u64_u32 v[19:20], null, s20, v21, 0
	v_add_nc_u32_e32 v161, 0x138, v208
	v_add_nc_u32_e32 v51, 0x3dc, v208
	v_mad_u64_u32 v[12:13], null, s21, v208, v[1:2]
	v_mov_b32_e32 v1, v3
	v_mad_u64_u32 v[6:7], null, s20, v198, 0
	v_add_nc_u32_e32 v16, 0x2d8, v208
	s_waitcnt lgkmcnt(0)
	v_mul_lo_u32 v14, s7, v196
	v_mul_lo_u32 v17, s6, v197
	v_mad_u64_u32 v[10:11], null, s6, v196, 0
	v_dual_mov_b32 v3, v7 :: v_dual_add_nc_u32 v160, 0xd0, v208
	v_mad_u64_u32 v[8:9], null, s20, v16, 0
	v_mad_u64_u32 v[49:50], null, s20, v55, 0
	s_delay_alu instid0(VALU_DEP_4) | instskip(SKIP_3) | instid1(VALU_DEP_4)
	v_add3_u32 v11, v11, v17, v14
	v_mad_u64_u32 v[13:14], null, s21, v15, v[1:2]
	v_mad_u64_u32 v[14:15], null, s21, v198, v[3:4]
	v_dual_mov_b32 v7, v9 :: v_dual_add_nc_u32 v18, 0x30c, v208
	v_lshlrev_b64 v[9:10], 4, v[10:11]
	v_mov_b32_e32 v1, v12
	v_mov_b32_e32 v3, v13
	s_delay_alu instid0(VALU_DEP_4) | instskip(SKIP_2) | instid1(VALU_DEP_1)
	v_mad_u64_u32 v[11:12], null, s21, v16, v[7:8]
	v_mad_u64_u32 v[32:33], null, s20, v160, 0
	v_add_co_u32 v9, s0, s8, v9
	v_add_co_ci_u32_e64 v10, s0, s9, v10, s0
	v_lshlrev_b64 v[0:1], 4, v[0:1]
	v_mov_b32_e32 v7, v14
	s_delay_alu instid0(VALU_DEP_4) | instskip(NEXT) | instid1(VALU_DEP_1)
	v_add_co_u32 v40, s0, v9, v4
	v_add_co_ci_u32_e64 v41, s0, v10, v5, s0
	v_lshlrev_b64 v[2:3], 4, v[2:3]
	v_dual_mov_b32 v9, v11 :: v_dual_add_nc_u32 v42, 0x374, v208
	s_delay_alu instid0(VALU_DEP_4)
	v_add_co_u32 v0, s0, v40, v0
	v_lshlrev_b64 v[4:5], 4, v[6:7]
	v_add_co_ci_u32_e64 v1, s0, v41, v1, s0
	v_mad_u64_u32 v[10:11], null, s20, v147, 0
	v_add_co_u32 v2, s0, v40, v2
	v_lshlrev_b64 v[6:7], 4, v[8:9]
	v_mad_u64_u32 v[8:9], null, s20, v18, 0
	v_add_co_ci_u32_e64 v3, s0, v41, v3, s0
	v_add_co_u32 v12, s0, v40, v4
	s_delay_alu instid0(VALU_DEP_1) | instskip(SKIP_1) | instid1(VALU_DEP_3)
	v_add_co_ci_u32_e64 v13, s0, v41, v5, s0
	v_mad_u64_u32 v[34:35], null, s20, v42, 0
	v_mad_u64_u32 v[4:5], null, s21, v147, v[11:12]
	v_dual_mov_b32 v5, v9 :: v_dual_add_nc_u32 v112, 0x104, v208
	v_add_nc_u32_e32 v111, 0x9c, v208
	v_add_co_u32 v14, s0, v40, v6
	s_delay_alu instid0(VALU_DEP_3) | instskip(NEXT) | instid1(VALU_DEP_3)
	v_mad_u64_u32 v[16:17], null, s21, v18, v[5:6]
	v_mad_u64_u32 v[17:18], null, s20, v111, 0
	v_add_co_ci_u32_e64 v15, s0, v41, v7, s0
	v_dual_mov_b32 v11, v4 :: v_dual_add_nc_u32 v46, 0x3a8, v208
	s_clause 0x3
	global_load_b128 v[4:7], v[0:1], off
	global_load_b128 v[24:27], v[2:3], off
	;; [unrolled: 1-line block ×4, first 2 shown]
	v_dual_mov_b32 v12, v18 :: v_dual_mov_b32 v13, v20
	v_mov_b32_e32 v9, v16
	v_mad_u64_u32 v[36:37], null, s20, v112, 0
	v_lshlrev_b64 v[10:11], 4, v[10:11]
	s_delay_alu instid0(VALU_DEP_4) | instskip(SKIP_4) | instid1(VALU_DEP_1)
	v_mad_u64_u32 v[14:15], null, s21, v111, v[12:13]
	v_mov_b32_e32 v12, v33
	v_lshlrev_b64 v[8:9], 4, v[8:9]
	v_add_nc_u32_e32 v104, 0x1a0, v208
	v_add_co_u32 v10, s0, v40, v10
	v_add_co_ci_u32_e64 v11, s0, v41, v11, s0
	v_mov_b32_e32 v18, v14
	v_mad_u64_u32 v[15:16], null, s21, v21, v[13:14]
	v_add_co_u32 v8, s0, v40, v8
	s_delay_alu instid0(VALU_DEP_3) | instskip(SKIP_1) | instid1(VALU_DEP_4)
	v_lshlrev_b64 v[13:14], 4, v[17:18]
	v_add_co_ci_u32_e64 v9, s0, v41, v9, s0
	v_dual_mov_b32 v20, v15 :: v_dual_add_nc_u32 v105, 0x208, v208
	v_add_nc_u32_e32 v106, 0x270, v208
	s_delay_alu instid0(VALU_DEP_4) | instskip(SKIP_1) | instid1(VALU_DEP_4)
	v_mad_u64_u32 v[17:18], null, s21, v160, v[12:13]
	v_mov_b32_e32 v12, v35
	v_lshlrev_b64 v[15:16], 4, v[19:20]
	v_add_co_u32 v20, s0, v40, v13
	s_delay_alu instid0(VALU_DEP_1) | instskip(NEXT) | instid1(VALU_DEP_4)
	v_add_co_ci_u32_e64 v21, s0, v41, v14, s0
	v_mad_u64_u32 v[38:39], null, s21, v42, v[12:13]
	v_mov_b32_e32 v33, v17
	v_add_co_u32 v22, s0, v40, v15
	s_delay_alu instid0(VALU_DEP_1) | instskip(NEXT) | instid1(VALU_DEP_3)
	v_add_co_ci_u32_e64 v23, s0, v41, v16, s0
	v_lshlrev_b64 v[32:33], 4, v[32:33]
	v_mov_b32_e32 v35, v38
	v_mad_u64_u32 v[38:39], null, s20, v46, 0
	s_clause 0x3
	global_load_b128 v[12:15], v[10:11], off
	global_load_b128 v[16:19], v[8:9], off
	;; [unrolled: 1-line block ×4, first 2 shown]
	v_lshlrev_b64 v[34:35], 4, v[34:35]
	v_add_co_u32 v32, s0, v40, v32
	s_delay_alu instid0(VALU_DEP_1) | instskip(SKIP_3) | instid1(VALU_DEP_1)
	v_add_co_ci_u32_e64 v33, s0, v41, v33, s0
	v_mad_u64_u32 v[42:43], null, s21, v112, v[37:38]
	v_mad_u64_u32 v[44:45], null, s21, v46, v[39:40]
	v_add_co_u32 v34, s0, v40, v34
	v_add_co_ci_u32_e64 v35, s0, v41, v35, s0
	s_delay_alu instid0(VALU_DEP_4) | instskip(SKIP_3) | instid1(VALU_DEP_4)
	v_mov_b32_e32 v37, v42
	v_mad_u64_u32 v[42:43], null, s20, v161, 0
	v_mov_b32_e32 v39, v44
	v_mad_u64_u32 v[44:45], null, s20, v51, 0
	v_lshlrev_b64 v[36:37], 4, v[36:37]
	s_delay_alu instid0(VALU_DEP_2) | instskip(NEXT) | instid1(VALU_DEP_2)
	v_mad_u64_u32 v[46:47], null, s21, v161, v[43:44]
	v_add_co_u32 v47, s0, v40, v36
	s_delay_alu instid0(VALU_DEP_1) | instskip(SKIP_1) | instid1(VALU_DEP_4)
	v_add_co_ci_u32_e64 v48, s0, v41, v37, s0
	v_lshlrev_b64 v[36:37], 4, v[38:39]
	v_dual_mov_b32 v38, v45 :: v_dual_mov_b32 v43, v46
	s_delay_alu instid0(VALU_DEP_1) | instskip(SKIP_1) | instid1(VALU_DEP_4)
	v_mad_u64_u32 v[45:46], null, s21, v51, v[38:39]
	v_add_nc_u32_e32 v39, 0x410, v208
	v_add_co_u32 v51, s0, v40, v36
	s_delay_alu instid0(VALU_DEP_1) | instskip(SKIP_3) | instid1(VALU_DEP_2)
	v_add_co_ci_u32_e64 v52, s0, v41, v37, s0
	v_lshlrev_b64 v[36:37], 4, v[42:43]
	v_mov_b32_e32 v38, v50
	v_mad_u64_u32 v[42:43], null, s20, v39, 0
	v_mad_u64_u32 v[53:54], null, s21, v55, v[38:39]
	s_delay_alu instid0(VALU_DEP_4) | instskip(NEXT) | instid1(VALU_DEP_1)
	v_add_co_u32 v54, s0, v40, v36
	v_add_co_ci_u32_e64 v55, s0, v41, v37, s0
	v_lshlrev_b64 v[36:37], 4, v[44:45]
	v_mov_b32_e32 v38, v43
	v_mad_u64_u32 v[44:45], null, s20, v104, 0
	v_dual_mov_b32 v50, v53 :: v_dual_add_nc_u32 v53, 0x23c, v208
	s_delay_alu instid0(VALU_DEP_3)
	v_mad_u64_u32 v[56:57], null, s21, v39, v[38:39]
	v_add_nc_u32_e32 v39, 0x444, v208
	v_add_co_u32 v57, s0, v40, v36
	v_mov_b32_e32 v38, v45
	v_add_co_ci_u32_e64 v58, s0, v41, v37, s0
	v_lshlrev_b64 v[36:37], 4, v[49:50]
	v_mad_u64_u32 v[49:50], null, s20, v39, 0
	s_delay_alu instid0(VALU_DEP_4) | instskip(SKIP_1) | instid1(VALU_DEP_4)
	v_mad_u64_u32 v[45:46], null, s21, v104, v[38:39]
	v_dual_mov_b32 v43, v56 :: v_dual_add_nc_u32 v46, 0x1d4, v208
	v_add_co_u32 v59, s0, v40, v36
	s_delay_alu instid0(VALU_DEP_4) | instskip(SKIP_1) | instid1(VALU_DEP_4)
	v_mov_b32_e32 v38, v50
	v_add_co_ci_u32_e64 v60, s0, v41, v37, s0
	v_lshlrev_b64 v[36:37], 4, v[42:43]
	v_mad_u64_u32 v[42:43], null, s20, v46, 0
	s_delay_alu instid0(VALU_DEP_4) | instskip(SKIP_1) | instid1(VALU_DEP_4)
	v_mad_u64_u32 v[61:62], null, s21, v39, v[38:39]
	v_add_nc_u32_e32 v39, 0x478, v208
	v_add_co_u32 v62, s0, v40, v36
	s_delay_alu instid0(VALU_DEP_1) | instskip(SKIP_4) | instid1(VALU_DEP_4)
	v_add_co_ci_u32_e64 v63, s0, v41, v37, s0
	v_mov_b32_e32 v38, v43
	v_lshlrev_b64 v[36:37], 4, v[44:45]
	v_mad_u64_u32 v[44:45], null, s20, v39, 0
	v_mov_b32_e32 v50, v61
	v_mad_u64_u32 v[64:65], null, s21, v46, v[38:39]
	s_delay_alu instid0(VALU_DEP_4) | instskip(NEXT) | instid1(VALU_DEP_1)
	v_add_co_u32 v76, s0, v40, v36
	v_add_co_ci_u32_e64 v77, s0, v41, v37, s0
	v_mov_b32_e32 v38, v45
	v_lshlrev_b64 v[36:37], 4, v[49:50]
	v_dual_mov_b32 v43, v64 :: v_dual_add_nc_u32 v56, 0x4e0, v208
	v_mad_u64_u32 v[49:50], null, s20, v105, 0
	s_delay_alu instid0(VALU_DEP_4) | instskip(SKIP_2) | instid1(VALU_DEP_1)
	v_mad_u64_u32 v[45:46], null, s21, v39, v[38:39]
	v_add_nc_u32_e32 v39, 0x4ac, v208
	v_add_co_u32 v78, s0, v40, v36
	v_add_co_ci_u32_e64 v79, s0, v41, v37, s0
	v_lshlrev_b64 v[36:37], 4, v[42:43]
	s_delay_alu instid0(VALU_DEP_4) | instskip(SKIP_1) | instid1(VALU_DEP_3)
	v_mad_u64_u32 v[42:43], null, s20, v39, 0
	v_mov_b32_e32 v38, v50
	v_add_co_u32 v84, s0, v40, v36
	s_delay_alu instid0(VALU_DEP_2)
	v_mad_u64_u32 v[64:65], null, s21, v105, v[38:39]
	v_add_co_ci_u32_e64 v85, s0, v41, v37, s0
	v_lshlrev_b64 v[37:38], 4, v[44:45]
	v_mov_b32_e32 v36, v43
	v_mad_u64_u32 v[44:45], null, s20, v53, 0
	v_mov_b32_e32 v50, v64
	s_delay_alu instid0(VALU_DEP_3) | instskip(SKIP_1) | instid1(VALU_DEP_3)
	v_mad_u64_u32 v[65:66], null, s21, v39, v[36:37]
	v_add_co_u32 v86, s0, v40, v37
	v_lshlrev_b64 v[36:37], 4, v[49:50]
	v_mad_u64_u32 v[49:50], null, s20, v56, 0
	v_add_co_ci_u32_e64 v87, s0, v41, v38, s0
	v_mov_b32_e32 v43, v65
	v_mad_u64_u32 v[64:65], null, s20, v106, 0
	v_mov_b32_e32 v38, v45
	v_add_co_u32 v88, s0, v40, v36
	s_delay_alu instid0(VALU_DEP_1) | instskip(NEXT) | instid1(VALU_DEP_3)
	v_add_co_ci_u32_e64 v89, s0, v41, v37, s0
	v_mad_u64_u32 v[45:46], null, s21, v53, v[38:39]
	v_dual_mov_b32 v38, v50 :: v_dual_add_nc_u32 v53, 0x514, v208
	v_mov_b32_e32 v39, v65
	v_lshlrev_b64 v[36:37], 4, v[42:43]
	s_delay_alu instid0(VALU_DEP_3) | instskip(NEXT) | instid1(VALU_DEP_3)
	v_mad_u64_u32 v[66:67], null, s20, v53, 0
	v_mad_u64_u32 v[42:43], null, s21, v56, v[38:39]
	v_lshlrev_b64 v[43:44], 4, v[44:45]
	v_mad_u64_u32 v[72:73], null, s21, v106, v[39:40]
	v_add_co_u32 v90, s0, v40, v36
	s_delay_alu instid0(VALU_DEP_1) | instskip(SKIP_1) | instid1(VALU_DEP_4)
	v_add_co_ci_u32_e64 v91, s0, v41, v37, s0
	v_mov_b32_e32 v50, v42
	v_dual_mov_b32 v42, v67 :: v_dual_mov_b32 v65, v72
	v_add_co_u32 v92, s0, v40, v43
	s_clause 0x1
	global_load_b128 v[36:39], v[32:33], off
	global_load_b128 v[68:71], v[34:35], off
	v_mad_u64_u32 v[45:46], null, s21, v53, v[42:43]
	v_lshlrev_b64 v[42:43], 4, v[49:50]
	v_add_co_ci_u32_e64 v93, s0, v41, v44, s0
	s_clause 0x1
	global_load_b128 v[32:35], v[47:48], off
	global_load_b128 v[80:83], v[51:52], off
	v_lshlrev_b64 v[46:47], 4, v[64:65]
	v_mov_b32_e32 v67, v45
	v_add_co_u32 v52, s0, v40, v42
	s_delay_alu instid0(VALU_DEP_1) | instskip(NEXT) | instid1(VALU_DEP_3)
	v_add_co_ci_u32_e64 v53, s0, v41, v43, s0
	v_lshlrev_b64 v[42:43], 4, v[66:67]
	v_add_co_u32 v94, s0, v40, v46
	s_delay_alu instid0(VALU_DEP_1) | instskip(NEXT) | instid1(VALU_DEP_3)
	v_add_co_ci_u32_e64 v95, s0, v41, v47, s0
	v_add_co_u32 v107, s0, v40, v42
	s_delay_alu instid0(VALU_DEP_1)
	v_add_co_ci_u32_e64 v108, s0, v41, v43, s0
	s_clause 0xd
	global_load_b128 v[64:67], v[54:55], off
	global_load_b128 v[72:75], v[57:58], off
	;; [unrolled: 1-line block ×14, first 2 shown]
.LBB0_13:
	s_or_b32 exec_lo, exec_lo, s1
	s_waitcnt vmcnt(24)
	v_add_f64 v[109:110], v[4:5], -v[24:25]
	s_waitcnt vmcnt(22)
	v_add_f64 v[28:29], v[0:1], -v[28:29]
	;; [unrolled: 2-line block ×8, first 2 shown]
	v_add_f64 v[129:130], v[64:65], -v[72:73]
	s_waitcnt vmcnt(2)
	v_add_f64 v[154:155], v[48:49], -v[88:89]
	v_add_f64 v[137:138], v[56:57], -v[76:77]
	;; [unrolled: 1-line block ×3, first 2 shown]
	s_waitcnt vmcnt(0)
	v_add_f64 v[158:159], v[52:53], -v[92:93]
	v_add_f64 v[76:77], v[2:3], -v[30:31]
	;; [unrolled: 1-line block ×5, first 2 shown]
	s_clause 0x1
	scratch_store_b32 off, v112, off offset:100
	scratch_store_b32 off, v111, off offset:16
	v_lshl_add_u32 v100, v111, 4, 0
	v_lshl_add_u32 v101, v112, 4, 0
	v_add_f64 v[84:85], v[66:67], -v[74:75]
	v_lshl_add_u32 v16, v161, 4, 0
	v_lshl_add_u32 v96, v208, 4, 0
	;; [unrolled: 1-line block ×6, first 2 shown]
	s_load_b64 s[2:3], s[2:3], 0x0
	scratch_store_b32 off, v147, off offset:520 ; 4-byte Folded Spill
	v_lshl_add_u32 v201, v208, 3, 0
	v_and_b32_e32 v216, 1, v208
	s_mov_b32 s6, 0x4267c47c
	s_mov_b32 s8, 0xe00740e9
	;; [unrolled: 1-line block ×7, first 2 shown]
	v_fma_f64 v[107:108], v[4:5], 2.0, -v[109:110]
	v_fma_f64 v[26:27], v[0:1], 2.0, -v[28:29]
	;; [unrolled: 1-line block ×8, first 2 shown]
	v_add_f64 v[40:41], v[38:39], -v[70:71]
	v_add_f64 v[60:61], v[58:59], -v[78:79]
	v_fma_f64 v[127:128], v[64:65], 2.0, -v[129:130]
	v_fma_f64 v[152:153], v[48:49], 2.0, -v[154:155]
	v_add_f64 v[36:37], v[34:35], -v[82:83]
	v_add_f64 v[48:49], v[46:47], -v[98:99]
	;; [unrolled: 1-line block ×3, first 2 shown]
	v_fma_f64 v[135:136], v[56:57], 2.0, -v[137:138]
	v_fma_f64 v[139:140], v[44:45], 2.0, -v[141:142]
	;; [unrolled: 1-line block ×3, first 2 shown]
	v_add_f64 v[44:45], v[42:43], -v[102:103]
	v_add_f64 v[52:53], v[50:51], -v[90:91]
	;; [unrolled: 1-line block ×3, first 2 shown]
	v_lshl_add_u32 v32, v105, 4, 0
	v_dual_mov_b32 v98, v16 :: v_dual_lshlrev_b32 v1, 3, v105
	v_lshlrev_b32_e32 v8, 3, v160
	v_fma_f64 v[74:75], v[2:3], 2.0, -v[76:77]
	v_lshl_add_u32 v33, v106, 4, 0
	s_delay_alu instid0(VALU_DEP_4)
	v_sub_nc_u32_e32 v13, v32, v1
	v_lshlrev_b32_e32 v9, 3, v161
	v_fma_f64 v[70:71], v[6:7], 2.0, -v[72:73]
	v_fma_f64 v[78:79], v[10:11], 2.0, -v[80:81]
	;; [unrolled: 1-line block ×3, first 2 shown]
	v_lshlrev_b32_e32 v0, 3, v104
	v_sub_nc_u32_e32 v3, v16, v9
	v_lshlrev_b32_e32 v5, 3, v147
	s_clause 0x4
	scratch_store_b32 off, v5, off offset:28
	scratch_store_b32 off, v160, off offset:524
	;; [unrolled: 1-line block ×5, first 2 shown]
	ds_store_b128 v96, v[107:110]
	ds_store_b128 v97, v[26:29]
	;; [unrolled: 1-line block ×7, first 2 shown]
	ds_store_b128 v96, v[131:134] offset:5824
	ds_store_b128 v143, v[135:138]
	ds_store_b128 v96, v[139:142] offset:7488
	ds_store_b128 v32, v[148:151]
	;; [unrolled: 2-line block ×3, first 2 shown]
	v_mov_b32_e32 v148, v3
	v_fma_f64 v[28:29], v[14:15], 2.0, -v[30:31]
	v_fma_f64 v[38:39], v[38:39], 2.0, -v[40:41]
	;; [unrolled: 1-line block ×6, first 2 shown]
	v_lshlrev_b32_e32 v4, 3, v106
	v_sub_nc_u32_e32 v17, v143, v0
	v_sub_nc_u32_e32 v0, v162, v5
	v_fma_f64 v[42:43], v[42:43], 2.0, -v[44:45]
	v_fma_f64 v[50:51], v[50:51], 2.0, -v[52:53]
	;; [unrolled: 1-line block ×3, first 2 shown]
	v_lshl_add_u32 v2, v198, 3, 0
	v_add_nc_u32_e32 v5, 0x1c00, v201
	v_sub_nc_u32_e32 v12, v33, v4
	v_mov_b32_e32 v119, v0
	v_sub_nc_u32_e32 v1, v163, v8
	v_mov_b32_e32 v120, v2
	v_dual_mov_b32 v115, v5 :: v_dual_add_nc_u32 v4, 0x1000, v201
	v_add_nc_u32_e32 v86, 0x2000, v201
	v_add_nc_u32_e32 v66, 0x800, v201
	s_delay_alu instid0(VALU_DEP_3)
	v_dual_mov_b32 v140, v4 :: v_dual_add_nc_u32 v67, 0xc00, v201
	v_dual_mov_b32 v118, v1 :: v_dual_add_nc_u32 v99, 0x1800, v201
	v_mov_b32_e32 v147, v17
	v_dual_mov_b32 v142, v13 :: v_dual_mov_b32 v141, v12
	v_mov_b32_e32 v105, v86
	v_mov_b32_e32 v104, v66
	;; [unrolled: 1-line block ×3, first 2 shown]
	s_waitcnt lgkmcnt(0)
	s_waitcnt_vscnt null, 0x0
	s_barrier
	buffer_gl0_inv
	s_clause 0x7
	scratch_store_b32 off, v147, off offset:68
	scratch_store_b32 off, v142, off offset:84
	;; [unrolled: 1-line block ×7, first 2 shown]
	scratch_store_b32 off, v119, off
	ds_load_b64 v[108:109], v3
	ds_load_b64 v[94:95], v2
	;; [unrolled: 1-line block ×7, first 2 shown]
	ds_load_b64 v[112:113], v201 offset:10400
	ds_load_2addr_b64 v[0:3], v201 offset1:156
	ds_load_2addr_b64 v[24:27], v4 offset0:164 offset1:216
	scratch_store_b32 off, v140, off offset:60 ; 4-byte Folded Spill
	ds_load_2addr_b64 v[20:23], v99 offset0:12 offset1:64
	ds_load_2addr_b64 v[16:19], v99 offset0:116 offset1:168
	;; [unrolled: 1-line block ×3, first 2 shown]
	scratch_store_b32 off, v115, off offset:56 ; 4-byte Folded Spill
	ds_load_2addr_b64 v[8:11], v86 offset0:68 offset1:120
	ds_load_2addr_b64 v[4:7], v86 offset0:172 offset1:224
	ds_load_2addr_b64 v[90:93], v66 offset0:4 offset1:108
	s_clause 0x1
	scratch_store_b32 off, v104, off offset:12
	scratch_store_b32 off, v114, off offset:48
	ds_load_2addr_b64 v[86:89], v67 offset0:84 offset1:188
	s_waitcnt lgkmcnt(0)
	s_waitcnt_vscnt null, 0x0
	s_barrier
	buffer_gl0_inv
	ds_store_b128 v96, v[70:73]
	ds_store_b128 v97, v[74:77]
	scratch_store_b32 off, v162, off offset:20 ; 4-byte Folded Spill
	ds_store_b128 v162, v[28:31]
	ds_store_b128 v100, v[78:81]
	v_mul_u32_u24_e32 v28, 12, v216
	scratch_store_b32 off, v163, off offset:24 ; 4-byte Folded Spill
	ds_store_b128 v163, v[38:41]
	ds_store_b128 v101, v[34:37]
	;; [unrolled: 1-line block ×3, first 2 shown]
	ds_store_b128 v96, v[42:45] offset:5824
	ds_store_b128 v143, v[58:61]
	ds_store_b128 v96, v[46:49] offset:7488
	ds_store_b128 v32, v[62:65]
	;; [unrolled: 2-line block ×3, first 2 shown]
	v_lshlrev_b32_e32 v48, 4, v28
	s_waitcnt lgkmcnt(0)
	s_waitcnt_vscnt null, 0x0
	s_barrier
	buffer_gl0_inv
	s_clause 0xb
	global_load_b128 v[32:35], v48, s[4:5] offset:176
	global_load_b128 v[28:31], v48, s[4:5]
	global_load_b128 v[126:129], v48, s[4:5] offset:16
	global_load_b128 v[36:39], v48, s[4:5] offset:160
	;; [unrolled: 1-line block ×10, first 2 shown]
	scratch_store_b32 off, v105, off offset:44 ; 4-byte Folded Spill
	ds_load_2addr_b64 v[48:51], v105 offset0:172 offset1:224
	ds_load_b64 v[70:71], v119
	ds_load_b64 v[72:73], v118
	ds_load_b64 v[124:125], v201 offset:10400
	ds_load_b64 v[96:97], v120
	ds_load_2addr_b64 v[156:159], v104 offset0:4 offset1:108
	s_mov_b32 s7, 0xbfddbe06
	s_mov_b32 s9, 0x3fec55a7
	;; [unrolled: 1-line block ×29, first 2 shown]
	v_cmp_gt_u32_e64 s0, 26, v208
	s_waitcnt vmcnt(11)
	v_mul_f64 v[64:65], v[6:7], v[34:35]
	s_waitcnt vmcnt(10)
	v_mul_f64 v[66:67], v[68:69], v[30:31]
	;; [unrolled: 2-line block ×4, first 2 shown]
	s_waitcnt lgkmcnt(5)
	v_mul_f64 v[78:79], v[50:51], v[34:35]
	s_waitcnt lgkmcnt(4)
	v_mul_f64 v[80:81], v[70:71], v[30:31]
	s_waitcnt vmcnt(6)
	v_mul_f64 v[122:123], v[14:15], v[42:43]
	s_waitcnt lgkmcnt(3)
	v_mul_f64 v[118:119], v[72:73], v[128:129]
	s_waitcnt lgkmcnt(0)
	v_mul_f64 v[160:161], v[156:157], v[128:129]
	v_mul_f64 v[128:129], v[90:91], v[128:129]
	v_mul_f64 v[180:181], v[158:159], v[136:137]
	v_mul_f64 v[184:185], v[92:93], v[136:137]
	s_waitcnt vmcnt(5)
	v_mul_f64 v[236:237], v[106:107], v[190:191]
	s_waitcnt vmcnt(4)
	v_mul_f64 v[242:243], v[88:89], v[222:223]
	;; [unrolled: 2-line block ×5, first 2 shown]
	v_mul_f64 v[246:247], v[18:19], v[46:47]
	v_mul_f64 v[168:169], v[116:117], v[62:63]
	;; [unrolled: 1-line block ×4, first 2 shown]
	v_fma_f64 v[50:51], v[50:51], v[32:33], -v[64:65]
	v_fma_f64 v[120:121], v[70:71], v[28:29], -v[66:67]
	ds_load_2addr_b64 v[64:67], v105 offset0:68 offset1:120
	v_fma_f64 v[132:133], v[72:73], v[126:127], -v[74:75]
	v_mul_f64 v[104:105], v[108:109], v[136:137]
	v_fma_f64 v[149:150], v[6:7], v[32:33], v[78:79]
	v_fma_f64 v[192:193], v[68:69], v[28:29], v[80:81]
	;; [unrolled: 1-line block ×3, first 2 shown]
	s_waitcnt lgkmcnt(0)
	v_fma_f64 v[100:101], v[66:67], v[36:37], -v[76:77]
	v_mul_f64 v[130:131], v[66:67], v[38:39]
	scratch_store_b64 off, v[50:51], off offset:136 ; 8-byte Folded Spill
	v_add_f64 v[138:139], v[120:121], -v[50:51]
	s_clause 0x1
	scratch_store_b64 off, v[132:133], off offset:128
	scratch_store_b64 off, v[100:101], off offset:120
	ds_load_b64 v[6:7], v148
	ds_load_b64 v[228:229], v147
	ds_load_2addr_b64 v[224:227], v114 offset0:84 offset1:188
	ds_load_b64 v[230:231], v142
	ds_load_2addr_b64 v[70:73], v115 offset0:92 offset1:144
	;; [unrolled: 2-line block ×3, first 2 shown]
	ds_load_2addr_b64 v[78:81], v99 offset0:12 offset1:64
	scratch_store_b32 off, v99, off offset:64 ; 4-byte Folded Spill
	ds_load_2addr_b64 v[74:77], v99 offset0:116 offset1:168
	ds_load_2addr_b64 v[66:69], v201 offset1:156
	v_fma_f64 v[102:103], v[10:11], v[36:37], v[130:131]
	v_add_f64 v[130:131], v[132:133], -v[100:101]
	v_fma_f64 v[99:100], v[90:91], v[126:127], v[160:161]
	v_fma_f64 v[114:115], v[92:93], v[134:135], v[180:181]
	v_mul_f64 v[140:141], v[138:139], s[14:15]
	v_mul_f64 v[142:143], v[138:139], s[18:19]
	;; [unrolled: 1-line block ×3, first 2 shown]
	s_waitcnt lgkmcnt(9)
	v_mul_f64 v[232:233], v[6:7], v[136:137]
	s_waitcnt lgkmcnt(8)
	v_mul_f64 v[234:235], v[228:229], v[190:191]
	;; [unrolled: 2-line block ×4, first 2 shown]
	v_mul_f64 v[222:223], v[110:111], v[222:223]
	v_fma_f64 v[104:105], v[6:7], v[134:135], -v[104:105]
	s_waitcnt lgkmcnt(5)
	v_fma_f64 v[6:7], v[72:73], v[40:41], -v[122:123]
	s_waitcnt lgkmcnt(3)
	v_mul_f64 v[172:173], v[82:83], v[62:63]
	s_waitcnt lgkmcnt(2)
	v_mul_f64 v[164:165], v[78:79], v[58:59]
	v_mul_f64 v[238:239], v[224:225], v[190:191]
	;; [unrolled: 1-line block ×6, first 2 shown]
	v_fma_f64 v[62:63], v[156:157], v[126:127], -v[128:129]
	v_fma_f64 v[58:59], v[158:159], v[134:135], -v[184:185]
	s_waitcnt lgkmcnt(1)
	v_mul_f64 v[184:185], v[76:77], v[46:47]
	v_mul_f64 v[160:161], v[70:71], v[46:47]
	;; [unrolled: 1-line block ×4, first 2 shown]
	v_fma_f64 v[90:91], v[228:229], v[188:189], -v[236:237]
	v_fma_f64 v[206:207], v[82:83], v[60:61], -v[176:177]
	v_mul_f64 v[176:177], v[112:113], v[34:35]
	v_mul_f64 v[174:175], v[80:81], v[54:55]
	;; [unrolled: 1-line block ×3, first 2 shown]
	v_add_f64 v[136:137], v[192:193], v[149:150]
	v_add_f64 v[122:123], v[118:119], v[102:103]
	v_mul_f64 v[228:229], v[130:131], s[42:43]
	v_mul_f64 v[126:127], v[130:131], s[22:23]
	;; [unrolled: 1-line block ×3, first 2 shown]
	v_fma_f64 v[108:109], v[108:109], v[134:135], v[232:233]
	v_fma_f64 v[106:107], v[106:107], v[188:189], v[234:235]
	;; [unrolled: 1-line block ×3, first 2 shown]
	v_mul_f64 v[232:233], v[8:9], v[42:43]
	v_mul_f64 v[234:235], v[48:49], v[38:39]
	s_clause 0x1
	scratch_store_b64 off, v[104:105], off offset:112
	scratch_store_b64 off, v[6:7], off offset:104
	v_add_f64 v[134:135], v[104:105], -v[6:7]
	v_fma_f64 v[6:7], v[230:231], v[220:221], -v[222:223]
	v_fma_f64 v[42:43], v[80:81], v[52:53], -v[186:187]
	v_fma_f64 v[24:25], v[24:25], v[60:61], v[172:173]
	v_mul_f64 v[172:173], v[124:125], v[34:35]
	v_fma_f64 v[88:89], v[84:85], v[56:57], -v[162:163]
	v_fma_f64 v[20:21], v[20:21], v[56:57], v[164:165]
	v_add_f64 v[84:85], v[120:121], v[50:51]
	v_fma_f64 v[54:55], v[224:225], v[188:189], -v[190:191]
	v_dual_mov_b32 v10, v149 :: v_dual_mov_b32 v11, v150
	s_clause 0x1
	scratch_store_b64 off, v[118:119], off offset:160
	scratch_store_b64 off, v[102:103], off offset:152
	v_mul_f64 v[148:149], v[138:139], s[22:23]
	v_mul_f64 v[150:151], v[138:139], s[26:27]
	s_clause 0x1
	scratch_store_b64 off, v[10:11], off offset:168
	scratch_store_b64 off, v[90:91], off offset:216
	v_fma_f64 v[72:73], v[86:87], v[188:189], v[238:239]
	v_fma_f64 v[213:214], v[116:117], v[60:61], v[154:155]
	v_fma_f64 v[116:117], v[152:153], v[60:61], -v[168:169]
	v_mul_f64 v[168:169], v[4:5], v[38:39]
	v_fma_f64 v[152:153], v[26:27], v[56:57], v[170:171]
	s_waitcnt lgkmcnt(0)
	v_mul_f64 v[170:171], v[68:69], v[30:31]
	v_fma_f64 v[38:39], v[78:79], v[56:57], -v[178:179]
	v_mul_f64 v[238:239], v[2:3], v[30:31]
	v_fma_f64 v[56:57], v[12:13], v[44:45], v[160:161]
	v_mul_f64 v[138:139], v[138:139], s[6:7]
	v_fma_f64 v[188:189], v[136:137], s[16:17], v[140:141]
	v_fma_f64 v[190:191], v[136:137], s[20:21], v[142:143]
	v_fma_f64 v[230:231], v[136:137], s[34:35], v[166:167]
	v_fma_f64 v[166:167], v[136:137], s[34:35], -v[166:167]
	v_fma_f64 v[50:51], v[70:71], v[44:45], -v[156:157]
	v_fma_f64 v[86:87], v[110:111], v[220:221], v[244:245]
	scratch_store_b64 off, v[46:47], off offset:144 ; 8-byte Folded Spill
	v_fma_f64 v[46:47], v[14:15], v[40:41], v[248:249]
	v_fma_f64 v[14:15], v[76:77], v[44:45], -v[246:247]
	v_fma_f64 v[76:77], v[226:227], v[220:221], -v[242:243]
	v_fma_f64 v[92:93], v[22:23], v[52:53], v[174:175]
	v_fma_f64 v[22:23], v[8:9], v[40:41], v[158:159]
	scratch_store_b64 off, v[6:7], off offset:224 ; 8-byte Folded Spill
	v_add_f64 v[160:161], v[6:7], -v[42:43]
	v_fma_f64 v[6:7], v[4:5], v[36:37], v[234:235]
	v_fma_f64 v[12:13], v[112:113], v[32:33], v[172:173]
	scratch_store_b64 off, v[108:109], off offset:248 ; 8-byte Folded Spill
	v_fma_f64 v[4:5], v[124:125], v[32:33], -v[176:177]
	v_add_f64 v[32:33], v[192:193], -v[10:11]
	v_add_f64 v[10:11], v[0:1], v[192:193]
	scratch_store_b64 off, v[20:21], off offset:376 ; 8-byte Folded Spill
	v_fma_f64 v[20:21], v[64:65], v[40:41], -v[232:233]
	v_mul_f64 v[64:65], v[84:85], s[8:9]
	v_mul_f64 v[70:71], v[84:85], s[16:17]
	v_fma_f64 v[222:223], v[136:137], s[24:25], v[148:149]
	v_fma_f64 v[226:227], v[136:137], s[28:29], v[150:151]
	v_mul_f64 v[124:125], v[84:85], s[20:21]
	v_fma_f64 v[18:19], v[18:19], v[44:45], v[184:185]
	v_mul_f64 v[156:157], v[84:85], s[24:25]
	v_mul_f64 v[158:159], v[84:85], s[28:29]
	;; [unrolled: 1-line block ×3, first 2 shown]
	v_fma_f64 v[8:9], v[48:49], v[36:37], -v[168:169]
	v_mul_f64 v[224:225], v[130:131], s[36:37]
	v_fma_f64 v[2:3], v[2:3], v[28:29], v[170:171]
	v_mul_f64 v[84:85], v[84:85], s[34:35]
	v_fma_f64 v[217:218], v[16:17], v[52:53], v[180:181]
	v_fma_f64 v[34:35], v[74:75], v[52:53], -v[182:183]
	v_mul_f64 v[182:183], v[134:135], s[14:15]
	v_add_f64 v[78:79], v[0:1], v[188:189]
	v_add_f64 v[186:187], v[0:1], v[190:191]
	v_add_f64 v[230:231], v[0:1], v[230:231]
	v_add_f64 v[48:49], v[0:1], v[166:167]
	v_mul_f64 v[52:53], v[134:135], s[26:27]
	v_fma_f64 v[236:237], v[122:123], s[8:9], v[228:229]
	v_add_f64 v[234:235], v[116:117], -v[88:89]
	v_add_f64 v[162:163], v[108:109], v[46:47]
	v_add_f64 v[164:165], v[90:91], -v[14:15]
	v_fma_f64 v[90:91], v[68:69], v[28:29], -v[238:239]
	v_fma_f64 v[28:29], v[136:137], s[8:9], v[138:139]
	v_fma_f64 v[68:69], v[136:137], s[8:9], -v[138:139]
	v_fma_f64 v[138:139], v[136:137], s[16:17], -v[140:141]
	;; [unrolled: 1-line block ×5, first 2 shown]
	v_mul_f64 v[174:175], v[134:135], s[30:31]
	v_mul_f64 v[178:179], v[134:135], s[40:41]
	v_mul_f64 v[180:181], v[134:135], s[42:43]
	scratch_store_b64 off, v[10:11], off offset:456 ; 8-byte Folded Spill
	v_add_f64 v[10:11], v[66:67], v[120:121]
	v_add_f64 v[120:121], v[213:214], v[152:153]
	v_fma_f64 v[240:241], v[32:33], s[42:43], v[64:65]
	v_fma_f64 v[64:65], v[32:33], s[6:7], v[64:65]
	v_add_f64 v[190:191], v[0:1], v[222:223]
	v_add_f64 v[226:227], v[0:1], v[226:227]
	v_fma_f64 v[242:243], v[32:33], s[38:39], v[70:71]
	v_fma_f64 v[70:71], v[32:33], s[14:15], v[70:71]
	;; [unrolled: 1-line block ×11, first 2 shown]
	v_add_f64 v[112:113], v[106:107], v[18:19]
	v_fma_f64 v[252:253], v[32:33], s[30:31], v[84:85]
	v_fma_f64 v[74:75], v[122:123], s[24:25], v[126:127]
	v_fma_f64 v[184:185], v[122:123], s[34:35], v[128:129]
	v_fma_f64 v[44:45], v[122:123], s[8:9], -v[228:229]
	v_add_f64 v[232:233], v[86:87], v[92:93]
	v_add_f64 v[230:231], v[236:237], v[230:231]
	v_mul_f64 v[32:33], v[234:235], s[26:27]
	v_mul_f64 v[236:237], v[160:161], s[36:37]
	;; [unrolled: 1-line block ×5, first 2 shown]
	v_add_f64 v[136:137], v[0:1], v[68:69]
	v_add_f64 v[118:119], v[0:1], v[138:139]
	;; [unrolled: 1-line block ×5, first 2 shown]
	v_mul_f64 v[142:143], v[234:235], s[38:39]
	v_mul_f64 v[140:141], v[234:235], s[42:43]
	;; [unrolled: 1-line block ×4, first 2 shown]
	scratch_store_b64 off, v[10:11], off offset:472 ; 8-byte Folded Spill
	v_add_f64 v[10:11], v[0:1], v[28:29]
	v_fma_f64 v[228:229], v[162:163], s[34:35], v[174:175]
	v_add_f64 v[0:1], v[66:67], v[64:65]
	scratch_store_b64 off, v[42:43], off offset:184 ; 8-byte Folded Spill
	v_mul_f64 v[150:151], v[160:161], s[14:15]
	v_mul_f64 v[238:239], v[160:161], s[42:43]
	;; [unrolled: 1-line block ×3, first 2 shown]
	v_mov_b32_e32 v155, v115
	s_clause 0x1
	scratch_store_b64 off, v[12:13], off offset:272
	scratch_store_b64 off, v[4:5], off offset:280
	v_mov_b32_e32 v154, v114
	v_mul_f64 v[134:135], v[134:135], s[18:19]
	v_mul_f64 v[164:165], v[164:165], s[22:23]
	v_add_f64 v[188:189], v[188:189], v[190:191]
	v_fma_f64 v[190:191], v[162:163], s[16:17], v[182:183]
	v_add_f64 v[222:223], v[222:223], v[226:227]
	v_fma_f64 v[226:227], v[162:163], s[28:29], v[52:53]
	v_fma_f64 v[52:53], v[162:163], s[28:29], -v[52:53]
	v_add_f64 v[74:75], v[74:75], v[78:79]
	v_fma_f64 v[78:79], v[162:163], s[24:25], v[178:179]
	v_add_f64 v[184:185], v[184:185], v[186:187]
	v_fma_f64 v[186:187], v[162:163], s[8:9], v[180:181]
	v_add_f64 v[44:45], v[44:45], v[48:49]
	v_mul_f64 v[48:49], v[160:161], s[46:47]
	v_mul_f64 v[130:131], v[130:131], s[14:15]
	v_fma_f64 v[148:149], v[112:113], s[16:17], -v[176:177]
	v_fma_f64 v[199:200], v[112:113], s[28:29], v[166:167]
	v_fma_f64 v[209:210], v[112:113], s[8:9], v[168:169]
	v_fma_f64 v[180:181], v[162:163], s[8:9], -v[180:181]
	v_fma_f64 v[182:183], v[162:163], s[16:17], -v[182:183]
	;; [unrolled: 1-line block ×6, first 2 shown]
	v_add_f64 v[138:139], v[66:67], v[240:241]
	v_fma_f64 v[194:195], v[112:113], s[20:21], v[170:171]
	v_fma_f64 v[170:171], v[112:113], s[20:21], -v[170:171]
	v_mul_f64 v[160:161], v[160:161], s[26:27]
	v_fma_f64 v[220:221], v[122:123], s[28:29], -v[220:221]
	v_fma_f64 v[224:225], v[122:123], s[20:21], -v[224:225]
	scratch_store_b64 off, v[0:1], off offset:192 ; 8-byte Folded Spill
	v_add_f64 v[0:1], v[66:67], v[70:71]
	s_clause 0x1
	scratch_store_b64 off, v[106:107], off offset:256
	scratch_store_b64 off, v[18:19], off offset:232
	v_mov_b32_e32 v107, v59
	v_fma_f64 v[240:241], v[120:121], s[28:29], -v[32:33]
	v_mov_b32_e32 v106, v58
	s_clause 0x1
	scratch_store_b64 off, v[86:87], off offset:264
	scratch_store_b64 off, v[10:11], off offset:512
	v_fma_f64 v[211:212], v[162:163], s[20:21], v[134:135]
	v_fma_f64 v[162:163], v[162:163], s[20:21], -v[134:135]
	v_fma_f64 v[104:105], v[112:113], s[24:25], v[164:165]
	v_fma_f64 v[132:133], v[112:113], s[24:25], -v[164:165]
	v_add_f64 v[190:191], v[190:191], v[222:223]
	v_fma_f64 v[222:223], v[112:113], s[16:17], v[176:177]
	v_add_f64 v[226:227], v[226:227], v[230:231]
	v_add_f64 v[228:229], v[228:229], v[74:75]
	v_mov_b32_e32 v135, v73
	v_add_f64 v[184:185], v[78:79], v[184:185]
	v_add_f64 v[186:187], v[186:187], v[188:189]
	v_fma_f64 v[188:189], v[112:113], s[34:35], v[172:173]
	v_add_f64 v[44:45], v[52:53], v[44:45]
	v_add_f64 v[52:53], v[66:67], v[242:243]
	v_dual_mov_b32 v165, v100 :: v_dual_mov_b32 v164, v99
	v_mov_b32_e32 v231, v57
	v_fma_f64 v[204:205], v[122:123], s[16:17], -v[130:131]
	v_mov_b32_e32 v134, v72
	v_add_f64 v[108:109], v[220:221], v[108:109]
	v_add_f64 v[110:111], v[224:225], v[110:111]
	scratch_store_b64 off, v[0:1], off offset:200 ; 8-byte Folded Spill
	v_add_f64 v[0:1], v[66:67], v[244:245]
	v_add_f64 v[222:223], v[222:223], v[226:227]
	v_mul_f64 v[226:227], v[234:235], s[36:37]
	v_add_f64 v[184:185], v[209:210], v[184:185]
	v_fma_f64 v[209:210], v[232:233], s[34:35], v[48:49]
	v_add_f64 v[186:187], v[194:195], v[186:187]
	v_fma_f64 v[194:195], v[232:233], s[8:9], v[238:239]
	;; [unrolled: 2-line block ×3, first 2 shown]
	v_add_f64 v[44:45], v[148:149], v[44:45]
	v_add_f64 v[148:149], v[90:91], -v[4:5]
	v_fma_f64 v[238:239], v[232:233], s[8:9], -v[238:239]
	v_add_f64 v[136:137], v[204:205], v[136:137]
	v_add_f64 v[108:109], v[180:181], v[108:109]
	;; [unrolled: 1-line block ×3, first 2 shown]
	scratch_store_b64 off, v[0:1], off offset:488 ; 8-byte Folded Spill
	v_add_f64 v[0:1], v[66:67], v[124:125]
	s_clause 0x1
	scratch_store_b64 off, v[46:47], off offset:240
	scratch_store_b64 off, v[14:15], off offset:208
	v_mul_f64 v[124:125], v[234:235], s[22:23]
	v_mul_f64 v[234:235], v[234:235], s[30:31]
	v_add_f64 v[186:187], v[209:210], v[186:187]
	v_fma_f64 v[209:210], v[120:121], s[16:17], v[142:143]
	v_add_f64 v[188:189], v[194:195], v[188:189]
	v_add_f64 v[190:191], v[190:191], v[222:223]
	v_fma_f64 v[222:223], v[120:121], s[20:21], v[226:227]
	v_fma_f64 v[226:227], v[120:121], s[20:21], -v[226:227]
	v_mul_f64 v[244:245], v[148:149], s[30:31]
	v_add_f64 v[136:137], v[162:163], v[136:137]
	v_add_f64 v[108:109], v[170:171], v[108:109]
	scratch_store_b64 off, v[0:1], off offset:176 ; 8-byte Folded Spill
	v_add_f64 v[0:1], v[66:67], v[246:247]
	scratch_store_b64 off, v[22:23], off offset:448 ; 8-byte Folded Spill
	v_fma_f64 v[194:195], v[120:121], s[24:25], v[124:125]
	v_fma_f64 v[242:243], v[120:121], s[24:25], -v[124:125]
	v_fma_f64 v[246:247], v[232:233], s[34:35], -v[48:49]
	v_add_f64 v[186:187], v[209:210], v[186:187]
	v_mul_f64 v[209:210], v[148:149], s[18:19]
	v_add_f64 v[190:191], v[222:223], v[190:191]
	v_mul_f64 v[222:223], v[148:149], s[26:27]
	v_add_f64 v[136:137], v[132:133], v[136:137]
	scratch_store_b64 off, v[0:1], off offset:352 ; 8-byte Folded Spill
	v_add_f64 v[0:1], v[66:67], v[156:157]
	scratch_store_b64 off, v[24:25], off offset:368 ; 8-byte Folded Spill
	v_fma_f64 v[156:157], v[232:233], s[20:21], v[236:237]
	v_add_f64 v[188:189], v[194:195], v[188:189]
	v_mul_f64 v[194:195], v[148:149], s[22:23]
	v_fma_f64 v[236:237], v[232:233], s[20:21], -v[236:237]
	scratch_store_b64 off, v[0:1], off offset:304 ; 8-byte Folded Spill
	v_add_f64 v[0:1], v[66:67], v[248:249]
	scratch_store_b64 off, v[50:51], off offset:440 ; 8-byte Folded Spill
	v_fma_f64 v[248:249], v[122:123], s[24:25], -v[126:127]
	scratch_store_b64 off, v[0:1], off offset:344 ; 8-byte Folded Spill
	v_add_f64 v[0:1], v[66:67], v[158:159]
	scratch_store_b64 off, v[6:7], off offset:384 ; 8-byte Folded Spill
	v_add_f64 v[158:159], v[199:200], v[228:229]
	v_fma_f64 v[199:200], v[232:233], s[16:17], v[150:151]
	v_fma_f64 v[228:229], v[232:233], s[24:25], -v[254:255]
	v_fma_f64 v[254:255], v[120:121], s[8:9], -v[140:141]
	v_add_f64 v[118:119], v[248:249], v[118:119]
	scratch_store_b64 off, v[0:1], off offset:312 ; 8-byte Folded Spill
	v_add_f64 v[0:1], v[66:67], v[250:251]
	scratch_store_b64 off, v[20:21], off offset:408 ; 8-byte Folded Spill
	v_add_f64 v[156:157], v[156:157], v[158:159]
	v_fma_f64 v[158:159], v[120:121], s[8:9], v[140:141]
	v_add_f64 v[184:185], v[199:200], v[184:185]
	v_fma_f64 v[199:200], v[120:121], s[28:29], v[32:33]
	v_add_f64 v[44:45], v[228:229], v[44:45]
	v_add_f64 v[228:229], v[2:3], v[12:13]
	v_fma_f64 v[250:251], v[122:123], s[34:35], -v[128:129]
	v_dual_mov_b32 v141, v55 :: v_dual_mov_b32 v140, v54
	v_add_f64 v[118:119], v[174:175], v[118:119]
	scratch_store_b64 off, v[0:1], off offset:336 ; 8-byte Folded Spill
	v_add_f64 v[0:1], v[66:67], v[252:253]
	scratch_store_b64 off, v[38:39], off offset:400 ; 8-byte Folded Spill
	v_add_f64 v[156:157], v[158:159], v[156:157]
	v_mul_f64 v[158:159], v[148:149], s[6:7]
	v_add_f64 v[184:185], v[199:200], v[184:185]
	v_mul_f64 v[199:200], v[148:149], s[14:15]
	v_fma_f64 v[148:149], v[112:113], s[34:35], -v[172:173]
	v_dual_mov_b32 v173, v63 :: v_dual_mov_b32 v172, v62
	v_add_f64 v[124:125], v[226:227], v[44:45]
	v_fma_f64 v[226:227], v[122:123], s[16:17], v[130:131]
	v_add_f64 v[130:131], v[164:165], v[6:7]
	v_fma_f64 v[252:253], v[232:233], s[16:17], -v[150:151]
	v_add_f64 v[112:113], v[172:173], -v[8:9]
	v_add_f64 v[202:203], v[250:251], v[202:203]
	v_add_f64 v[118:119], v[166:167], v[118:119]
	scratch_store_b64 off, v[0:1], off offset:328 ; 8-byte Folded Spill
	v_fma_f64 v[0:1], v[120:121], s[16:17], -v[142:143]
	v_fma_f64 v[142:143], v[232:233], s[28:29], v[160:161]
	v_fma_f64 v[232:233], v[232:233], s[28:29], -v[160:161]
	v_dual_mov_b32 v161, v77 :: v_dual_mov_b32 v160, v76
	v_add_f64 v[110:111], v[148:149], v[110:111]
	v_mul_f64 v[122:123], v[112:113], s[22:23]
	v_mul_f64 v[126:127], v[112:113], s[44:45]
	;; [unrolled: 1-line block ×3, first 2 shown]
	v_add_f64 v[174:175], v[178:179], v[202:203]
	scratch_store_b64 off, v[0:1], off offset:504 ; 8-byte Folded Spill
	v_fma_f64 v[0:1], v[120:121], s[34:35], v[234:235]
	scratch_store_b64 off, v[34:35], off offset:360 ; 8-byte Folded Spill
	v_fma_f64 v[4:5], v[130:131], s[24:25], v[122:123]
	v_fma_f64 v[192:193], v[130:131], s[28:29], v[126:127]
	v_fma_f64 v[10:11], v[130:131], s[28:29], -v[126:127]
	v_fma_f64 v[150:151], v[130:131], s[20:21], v[128:129]
	v_fma_f64 v[14:15], v[130:131], s[20:21], -v[128:129]
	v_add_f64 v[166:167], v[168:169], v[174:175]
	scratch_store_b64 off, v[0:1], off offset:296 ; 8-byte Folded Spill
	v_fma_f64 v[0:1], v[120:121], s[34:35], -v[234:235]
	s_clause 0x1
	scratch_store_b64 off, v[8:9], off offset:392
	scratch_store_b64 off, v[2:3], off offset:320
	v_mul_f64 v[120:121], v[112:113], s[14:15]
	v_fma_f64 v[234:235], v[228:229], s[34:35], v[244:245]
	v_fma_f64 v[244:245], v[228:229], s[34:35], -v[244:245]
	v_fma_f64 v[8:9], v[130:131], s[24:25], -v[122:123]
	scratch_store_b64 off, v[0:1], off offset:288 ; 8-byte Folded Spill
	s_waitcnt_vscnt null, 0x0
	s_barrier
	buffer_gl0_inv
	scratch_load_b64 v[114:115], off, off offset:144 ; 8-byte Folded Reload
	v_lshrrev_b32_e32 v0, 1, v208
	v_fma_f64 v[2:3], v[130:131], s[16:17], v[120:121]
	v_fma_f64 v[16:17], v[130:131], s[16:17], -v[120:121]
	v_mov_b32_e32 v230, v56
	s_delay_alu instid0(VALU_DEP_4) | instskip(NEXT) | instid1(VALU_DEP_1)
	v_mul_u32_u24_e32 v0, 26, v0
	v_or_b32_e32 v0, v0, v216
	s_delay_alu instid0(VALU_DEP_1)
	v_lshl_add_u32 v215, v0, 3, 0
	ds_store_2addr_b64 v215, v[190:191], v[124:125] offset0:12 offset1:14
	v_mul_f64 v[124:125], v[112:113], s[30:31]
	v_mul_f64 v[112:113], v[112:113], s[42:43]
	ds_store_2addr_b64 v215, v[156:157], v[184:185] offset0:4 offset1:6
	v_fma_f64 v[156:157], v[228:229], s[8:9], v[158:159]
	v_fma_f64 v[184:185], v[228:229], s[16:17], v[199:200]
	ds_store_2addr_b64 v215, v[186:187], v[188:189] offset0:8 offset1:10
	v_fma_f64 v[186:187], v[228:229], s[20:21], v[209:210]
	v_fma_f64 v[188:189], v[228:229], s[24:25], v[194:195]
	v_fma_f64 v[190:191], v[228:229], s[28:29], v[222:223]
	v_fma_f64 v[194:195], v[228:229], s[24:25], -v[194:195]
	v_fma_f64 v[222:223], v[228:229], s[28:29], -v[222:223]
	;; [unrolled: 1-line block ×5, first 2 shown]
	v_fma_f64 v[6:7], v[130:131], s[34:35], v[124:125]
	v_fma_f64 v[228:229], v[130:131], s[8:9], v[112:113]
	v_fma_f64 v[18:19], v[130:131], s[8:9], -v[112:113]
	v_add_f64 v[112:113], v[106:107], -v[20:21]
	v_fma_f64 v[12:13], v[130:131], s[34:35], -v[124:125]
	v_add_f64 v[130:131], v[154:155], v[22:23]
	v_add_f64 v[156:157], v[94:95], v[156:157]
	;; [unrolled: 1-line block ×3, first 2 shown]
	v_mul_f64 v[120:121], v[112:113], s[18:19]
	v_mul_f64 v[122:123], v[112:113], s[30:31]
	;; [unrolled: 1-line block ×6, first 2 shown]
	v_add_f64 v[2:3], v[2:3], v[156:157]
	v_add_f64 v[156:157], v[94:95], v[184:185]
	;; [unrolled: 1-line block ×4, first 2 shown]
	v_fma_f64 v[20:21], v[130:131], s[20:21], v[120:121]
	v_fma_f64 v[26:27], v[130:131], s[34:35], v[122:123]
	v_fma_f64 v[36:37], v[130:131], s[34:35], -v[122:123]
	v_fma_f64 v[32:33], v[130:131], s[8:9], v[126:127]
	v_fma_f64 v[42:43], v[130:131], s[8:9], -v[126:127]
	;; [unrolled: 2-line block ×3, first 2 shown]
	v_add_f64 v[112:113], v[140:141], -v[50:51]
	v_fma_f64 v[28:29], v[130:131], s[16:17], v[128:129]
	v_fma_f64 v[40:41], v[130:131], s[16:17], -v[128:129]
	v_fma_f64 v[24:25], v[130:131], s[24:25], v[124:125]
	v_fma_f64 v[30:31], v[130:131], s[24:25], -v[124:125]
	v_fma_f64 v[22:23], v[130:131], s[20:21], -v[120:121]
	v_add_f64 v[130:131], v[134:135], v[56:57]
	v_add_f64 v[4:5], v[4:5], v[156:157]
	;; [unrolled: 1-line block ×7, first 2 shown]
	v_mul_f64 v[120:121], v[112:113], s[22:23]
	v_mul_f64 v[122:123], v[112:113], s[44:45]
	;; [unrolled: 1-line block ×6, first 2 shown]
	v_add_f64 v[16:17], v[22:23], v[16:17]
	v_add_f64 v[4:5], v[26:27], v[4:5]
	;; [unrolled: 1-line block ×7, first 2 shown]
	v_fma_f64 v[48:49], v[130:131], s[24:25], v[120:121]
	v_fma_f64 v[54:55], v[130:131], s[28:29], v[122:123]
	v_fma_f64 v[62:63], v[130:131], s[28:29], -v[122:123]
	v_fma_f64 v[58:59], v[130:131], s[20:21], v[126:127]
	v_fma_f64 v[66:67], v[130:131], s[20:21], -v[126:127]
	;; [unrolled: 2-line block ×3, first 2 shown]
	v_add_f64 v[112:113], v[160:161], -v[34:35]
	v_fma_f64 v[56:57], v[130:131], s[34:35], v[128:129]
	v_fma_f64 v[64:65], v[130:131], s[34:35], -v[128:129]
	v_fma_f64 v[50:51], v[130:131], s[8:9], v[124:125]
	v_fma_f64 v[60:61], v[130:131], s[8:9], -v[124:125]
	v_fma_f64 v[72:73], v[130:131], s[24:25], -v[120:121]
	v_add_f64 v[10:11], v[10:11], v[186:187]
	v_add_f64 v[186:187], v[94:95], v[222:223]
	;; [unrolled: 1-line block ×10, first 2 shown]
	v_mul_f64 v[126:127], v[112:113], s[46:47]
	v_mul_f64 v[120:121], v[112:113], s[26:27]
	;; [unrolled: 1-line block ×6, first 2 shown]
	v_add_f64 v[10:11], v[42:43], v[10:11]
	v_add_f64 v[14:15], v[14:15], v[186:187]
	;; [unrolled: 1-line block ×17, first 2 shown]
	v_mov_b32_e32 v255, v198
	s_waitcnt vmcnt(0)
	v_mov_b32_e32 v185, v115
	v_add_f64 v[130:131], v[114:115], v[217:218]
	v_mov_b32_e32 v184, v114
	v_add_f64 v[14:15], v[64:65], v[14:15]
	v_add_f64 v[8:9], v[36:37], v[8:9]
	;; [unrolled: 1-line block ×4, first 2 shown]
	v_fma_f64 v[80:81], v[130:131], s[34:35], v[126:127]
	v_fma_f64 v[86:87], v[130:131], s[34:35], -v[126:127]
	v_dual_mov_b32 v126, v206 :: v_dual_mov_b32 v127, v207
	v_fma_f64 v[84:85], v[130:131], s[24:25], v[112:113]
	v_fma_f64 v[98:99], v[130:131], s[24:25], -v[112:113]
	v_fma_f64 v[82:83], v[130:131], s[8:9], v[128:129]
	v_fma_f64 v[100:101], v[130:131], s[8:9], -v[128:129]
	v_add_f64 v[112:113], v[126:127], -v[38:39]
	s_clause 0x1
	scratch_load_b64 v[34:35], off, off offset:368
	scratch_load_b64 v[38:39], off, off offset:376
	v_fma_f64 v[78:79], v[130:131], s[20:21], v[122:123]
	v_fma_f64 v[102:103], v[130:131], s[20:21], -v[122:123]
	v_fma_f64 v[76:77], v[130:131], s[16:17], v[124:125]
	v_fma_f64 v[128:129], v[130:131], s[16:17], -v[124:125]
	;; [unrolled: 2-line block ×3, first 2 shown]
	v_add_f64 v[8:9], v[62:63], v[8:9]
	v_add_f64 v[12:13], v[30:31], v[12:13]
	;; [unrolled: 1-line block ×8, first 2 shown]
	v_mul_f64 v[0:1], v[112:113], s[30:31]
	v_mul_f64 v[120:121], v[112:113], s[42:43]
	;; [unrolled: 1-line block ×6, first 2 shown]
	v_add_f64 v[4:5], v[78:79], v[4:5]
	v_add_f64 v[2:3], v[74:75], v[2:3]
	;; [unrolled: 1-line block ×7, first 2 shown]
	s_delay_alu instid0(VALU_DEP_4) | instskip(NEXT) | instid1(VALU_DEP_2)
	v_add_f64 v[74:75], v[74:75], v[172:173]
	v_add_f64 v[12:13], v[128:129], v[12:13]
	s_delay_alu instid0(VALU_DEP_2) | instskip(SKIP_2) | instid1(VALU_DEP_1)
	v_add_f64 v[74:75], v[74:75], v[106:107]
	s_waitcnt vmcnt(0)
	v_add_f64 v[206:207], v[34:35], v[38:39]
	v_fma_f64 v[176:177], v[206:207], s[20:21], v[112:113]
	v_fma_f64 v[112:113], v[206:207], s[20:21], -v[112:113]
	scratch_store_b64 off, v[112:113], off offset:464 ; 8-byte Folded Spill
	v_fma_f64 v[112:113], v[206:207], s[16:17], v[124:125]
	scratch_store_b64 off, v[112:113], off offset:496 ; 8-byte Folded Spill
	v_fma_f64 v[112:113], v[206:207], s[16:17], -v[124:125]
	v_fma_f64 v[124:125], v[206:207], s[24:25], v[146:147]
	scratch_store_b64 off, v[112:113], off offset:432 ; 8-byte Folded Spill
	v_fma_f64 v[112:113], v[206:207], s[24:25], -v[146:147]
	v_fma_f64 v[146:147], v[206:207], s[8:9], v[120:121]
	v_add_f64 v[24:25], v[124:125], v[24:25]
	scratch_store_b64 off, v[112:113], off offset:424 ; 8-byte Folded Spill
	v_fma_f64 v[112:113], v[206:207], s[8:9], -v[120:121]
	scratch_store_b64 off, v[176:177], off offset:480 ; 8-byte Folded Spill
	scratch_load_b64 v[176:177], off, off offset:512 ; 8-byte Folded Reload
	v_fma_f64 v[120:121], v[206:207], s[28:29], v[122:123]
	v_fma_f64 v[122:123], v[206:207], s[28:29], -v[122:123]
	v_add_f64 v[4:5], v[146:147], v[4:5]
	scratch_store_b64 off, v[112:113], off offset:416 ; 8-byte Folded Spill
	v_fma_f64 v[112:113], v[206:207], s[34:35], v[0:1]
	v_fma_f64 v[0:1], v[206:207], s[34:35], -v[0:1]
	s_clause 0x1
	scratch_load_b64 v[186:187], off, off offset:128
	scratch_load_b64 v[158:159], off, off offset:472
	v_add_f64 v[6:7], v[120:121], v[6:7]
	v_add_f64 v[12:13], v[122:123], v[12:13]
	;; [unrolled: 1-line block ×4, first 2 shown]
	s_waitcnt vmcnt(2)
	v_add_f64 v[206:207], v[226:227], v[176:177]
	s_clause 0x10
	scratch_load_b64 v[226:227], off, off offset:120
	scratch_load_b64 v[190:191], off, off offset:160
	;; [unrolled: 1-line block ×17, first 2 shown]
	v_add_f64 v[178:179], v[211:212], v[206:207]
	s_waitcnt vmcnt(17)
	v_add_f64 v[158:159], v[158:159], v[186:187]
	v_dual_mov_b32 v207, v35 :: v_dual_mov_b32 v206, v34
	s_delay_alu instid0(VALU_DEP_3)
	v_add_f64 v[168:169], v[104:105], v[178:179]
	s_clause 0x1
	scratch_load_b64 v[104:105], off, off offset:256
	scratch_load_b64 v[182:183], off, off offset:240
	s_waitcnt vmcnt(18)
	v_add_f64 v[186:187], v[186:187], v[226:227]
	s_waitcnt vmcnt(16)
	v_add_f64 v[188:189], v[188:189], v[190:191]
	s_waitcnt vmcnt(15)
	v_add_f64 v[190:191], v[190:191], -v[228:229]
	s_waitcnt vmcnt(9)
	v_add_f64 v[22:23], v[158:159], v[28:29]
	s_waitcnt vmcnt(8)
	v_add_f64 v[28:29], v[28:29], v[180:181]
	;; [unrolled: 2-line block ×3, first 2 shown]
	v_mul_f64 v[192:193], v[186:187], s[16:17]
	v_add_f64 v[30:31], v[188:189], v[32:33]
	v_mov_b32_e32 v189, v135
	v_add_f64 v[74:75], v[74:75], v[140:141]
	v_mul_f64 v[211:212], v[28:29], s[34:35]
	v_mul_f64 v[202:203], v[28:29], s[20:21]
	;; [unrolled: 1-line block ×6, first 2 shown]
	v_add_f64 v[72:73], v[72:73], v[164:165]
	v_fma_f64 v[194:195], v[190:191], s[38:39], v[192:193]
	s_waitcnt vmcnt(0)
	v_add_f64 v[32:33], v[32:33], -v[182:183]
	v_add_f64 v[30:31], v[30:31], v[104:105]
	s_delay_alu instid0(VALU_DEP_4) | instskip(NEXT) | instid1(VALU_DEP_4)
	v_add_f64 v[72:73], v[72:73], v[154:155]
	v_add_f64 v[138:139], v[194:195], v[138:139]
	v_mul_f64 v[194:195], v[186:187], s[24:25]
	v_fma_f64 v[40:41], v[32:33], s[46:47], v[211:212]
	v_fma_f64 v[36:37], v[32:33], s[36:37], v[202:203]
	v_add_f64 v[30:31], v[30:31], v[148:149]
	v_fma_f64 v[16:17], v[32:33], s[44:45], v[28:29]
	v_fma_f64 v[28:29], v[32:33], s[26:27], v[28:29]
	v_add_f64 v[72:73], v[72:73], v[134:135]
	v_fma_f64 v[199:200], v[190:191], s[40:41], v[194:195]
	v_add_f64 v[36:37], v[36:37], v[138:139]
	v_add_f64 v[30:31], v[30:31], v[213:214]
	s_delay_alu instid0(VALU_DEP_4) | instskip(NEXT) | instid1(VALU_DEP_4)
	v_add_f64 v[72:73], v[72:73], v[114:115]
	v_add_f64 v[52:53], v[199:200], v[52:53]
	v_mul_f64 v[199:200], v[186:187], s[34:35]
	s_delay_alu instid0(VALU_DEP_4) | instskip(NEXT) | instid1(VALU_DEP_4)
	v_add_f64 v[30:31], v[30:31], v[152:153]
	v_add_f64 v[72:73], v[72:73], v[34:35]
	scratch_load_b64 v[34:35], off, off offset:272 ; 8-byte Folded Reload
	v_add_f64 v[40:41], v[40:41], v[52:53]
	v_fma_f64 v[204:205], v[190:191], s[46:47], v[199:200]
	v_fma_f64 v[52:53], v[32:33], s[22:23], v[42:43]
	v_add_f64 v[30:31], v[30:31], v[92:93]
	v_add_f64 v[72:73], v[72:73], v[38:39]
	s_delay_alu instid0(VALU_DEP_4) | instskip(SKIP_1) | instid1(VALU_DEP_3)
	v_add_f64 v[176:177], v[204:205], v[176:177]
	v_mul_f64 v[204:205], v[186:187], s[28:29]
	v_add_f64 v[72:73], v[72:73], v[217:218]
	s_delay_alu instid0(VALU_DEP_3) | instskip(NEXT) | instid1(VALU_DEP_3)
	v_add_f64 v[138:139], v[52:53], v[176:177]
	v_fma_f64 v[209:210], v[190:191], s[26:27], v[204:205]
	v_fma_f64 v[52:53], v[32:33], s[6:7], v[150:151]
	;; [unrolled: 1-line block ×4, first 2 shown]
	v_add_f64 v[72:73], v[72:73], v[230:231]
	v_add_f64 v[209:210], v[209:210], v[219:220]
	v_mul_f64 v[220:221], v[186:187], s[20:21]
	v_mul_f64 v[186:187], v[186:187], s[8:9]
	s_delay_alu instid0(VALU_DEP_3) | instskip(NEXT) | instid1(VALU_DEP_3)
	v_add_f64 v[156:157], v[52:53], v[209:210]
	v_fma_f64 v[222:223], v[190:191], s[18:19], v[220:221]
	v_fma_f64 v[52:53], v[32:33], s[38:39], v[158:159]
	v_dual_mov_b32 v210, v39 :: v_dual_mov_b32 v209, v38
	v_fma_f64 v[220:221], v[190:191], s[36:37], v[220:221]
	v_fma_f64 v[158:159], v[32:33], s[14:15], v[158:159]
	v_add_f64 v[222:223], v[222:223], v[224:225]
	v_fma_f64 v[224:225], v[190:191], s[6:7], v[186:187]
	v_fma_f64 v[186:187], v[190:191], s[42:43], v[186:187]
	s_delay_alu instid0(VALU_DEP_3) | instskip(NEXT) | instid1(VALU_DEP_3)
	v_add_f64 v[162:163], v[52:53], v[222:223]
	v_add_f64 v[224:225], v[224:225], v[234:235]
	scratch_load_b64 v[234:235], off, off offset:328 ; 8-byte Folded Reload
	v_add_f64 v[52:53], v[213:214], -v[152:153]
	s_clause 0x2
	scratch_load_b64 v[152:153], off, off offset:232
	scratch_load_b64 v[222:223], off, off offset:280
	;; [unrolled: 1-line block ×3, first 2 shown]
	v_add_f64 v[22:23], v[22:23], v[46:47]
	v_add_f64 v[46:47], v[46:47], v[170:171]
	v_add_f64 v[16:17], v[16:17], v[224:225]
	s_delay_alu instid0(VALU_DEP_3) | instskip(NEXT) | instid1(VALU_DEP_3)
	v_add_f64 v[22:23], v[22:23], v[132:133]
	v_mul_f64 v[50:51], v[46:47], s[24:25]
	v_mul_f64 v[56:57], v[46:47], s[28:29]
	;; [unrolled: 1-line block ×4, first 2 shown]
	v_add_f64 v[22:23], v[22:23], v[116:117]
	v_add_f64 v[116:117], v[148:149], -v[92:93]
	v_add_f64 v[92:93], v[232:233], v[136:137]
	s_delay_alu instid0(VALU_DEP_3)
	v_add_f64 v[22:23], v[22:23], v[88:89]
	v_add_f64 v[88:89], v[252:253], v[166:167]
	s_waitcnt vmcnt(3)
	v_add_f64 v[186:187], v[186:187], v[234:235]
	scratch_load_b64 v[234:235], off, off offset:304 ; 8-byte Folded Reload
	s_waitcnt vmcnt(3)
	v_add_f64 v[48:49], v[104:105], -v[152:153]
	v_add_f64 v[104:105], v[142:143], v[168:169]
	v_add_f64 v[30:31], v[30:31], v[152:153]
	s_waitcnt vmcnt(2)
	v_add_f64 v[76:77], v[90:91], v[222:223]
	v_add_f64 v[90:91], v[78:79], -v[34:35]
	s_waitcnt vmcnt(1)
	v_add_f64 v[22:23], v[22:23], v[38:39]
	v_add_f64 v[28:29], v[28:29], v[186:187]
	v_fma_f64 v[54:55], v[48:49], s[40:41], v[50:51]
	v_add_f64 v[30:31], v[30:31], v[182:183]
	v_mul_f64 v[78:79], v[76:77], s[8:9]
	v_mul_f64 v[80:81], v[76:77], s[16:17]
	;; [unrolled: 1-line block ×6, first 2 shown]
	v_add_f64 v[22:23], v[22:23], v[170:171]
	v_add_f64 v[54:55], v[54:55], v[36:37]
	v_fma_f64 v[36:37], v[48:49], s[26:27], v[56:57]
	v_add_f64 v[30:31], v[30:31], v[228:229]
	v_fma_f64 v[100:101], v[90:91], s[38:39], v[80:81]
	v_fma_f64 v[80:81], v[90:91], s[14:15], v[80:81]
	v_fma_f64 v[102:103], v[90:91], s[36:37], v[82:83]
	v_fma_f64 v[82:83], v[90:91], s[18:19], v[82:83]
	v_fma_f64 v[118:119], v[90:91], s[40:41], v[86:87]
	v_fma_f64 v[86:87], v[90:91], s[22:23], v[86:87]
	v_fma_f64 v[136:137], v[90:91], s[46:47], v[76:77]
	v_fma_f64 v[76:77], v[90:91], s[30:31], v[76:77]
	v_add_f64 v[22:23], v[22:23], v[180:181]
	v_add_f64 v[40:41], v[36:37], v[40:41]
	v_fma_f64 v[36:37], v[48:49], s[6:7], v[58:59]
	v_add_f64 v[100:101], v[96:97], v[100:101]
	v_add_f64 v[80:81], v[96:97], v[80:81]
	;; [unrolled: 1-line block ×10, first 2 shown]
	v_fma_f64 v[36:37], v[48:49], s[36:37], v[62:63]
	v_fma_f64 v[62:63], v[48:49], s[18:19], v[62:63]
	s_delay_alu instid0(VALU_DEP_2) | instskip(SKIP_3) | instid1(VALU_DEP_3)
	v_add_f64 v[64:65], v[36:37], v[156:157]
	v_add_f64 v[36:37], v[246:247], v[108:109]
	v_mul_f64 v[108:109], v[46:47], s[34:35]
	v_mul_f64 v[46:47], v[46:47], s[16:17]
	v_add_f64 v[36:37], v[70:71], v[36:37]
	v_add_f64 v[70:71], v[240:241], v[88:89]
	;; [unrolled: 1-line block ×3, first 2 shown]
	v_fma_f64 v[110:111], v[48:49], s[30:31], v[108:109]
	v_fma_f64 v[132:133], v[90:91], s[44:45], v[84:85]
	;; [unrolled: 1-line block ×4, first 2 shown]
	v_mul_f64 v[94:95], v[88:89], s[28:29]
	v_add_f64 v[110:111], v[110:111], v[162:163]
	v_add_f64 v[132:133], v[96:97], v[132:133]
	;; [unrolled: 1-line block ×3, first 2 shown]
	v_mul_f64 v[98:99], v[88:89], s[20:21]
	v_mul_f64 v[174:175], v[88:89], s[34:35]
	;; [unrolled: 1-line block ×3, first 2 shown]
	v_fma_f64 v[148:149], v[116:117], s[44:45], v[94:95]
	s_delay_alu instid0(VALU_DEP_4)
	v_fma_f64 v[152:153], v[116:117], s[18:19], v[98:99]
	s_waitcnt vmcnt(0)
	v_add_f64 v[204:205], v[204:205], v[234:235]
	scratch_load_b64 v[234:235], off, off offset:312 ; 8-byte Folded Reload
	ds_store_2addr_b64 v215, v[66:67], v[36:37] offset0:16 offset1:18
	ds_store_2addr_b64 v215, v[70:71], v[68:69] offset0:20 offset1:22
	scratch_load_b64 v[114:115], off, off offset:192 ; 8-byte Folded Reload
	v_fma_f64 v[36:37], v[190:191], s[14:15], v[192:193]
	v_fma_f64 v[68:69], v[190:191], s[30:31], v[199:200]
	s_clause 0x1
	scratch_load_b64 v[198:199], off, off offset:400
	scratch_load_b64 v[38:39], off, off offset:448
	v_fma_f64 v[66:67], v[190:191], s[22:23], v[194:195]
	scratch_load_b64 v[192:193], off, off offset:392 ; 8-byte Folded Reload
	v_dual_mov_b32 v191, v161 :: v_dual_mov_b32 v190, v160
	v_dual_mov_b32 v188, v134 :: v_dual_mov_b32 v195, v127
	v_mov_b32_e32 v194, v126
	v_fma_f64 v[70:71], v[90:91], s[42:43], v[78:79]
	s_delay_alu instid0(VALU_DEP_4)
	v_add_f64 v[74:75], v[74:75], v[190:191]
	v_fma_f64 v[78:79], v[90:91], s[6:7], v[78:79]
	v_mul_f64 v[90:91], v[88:89], s[16:17]
	v_mul_f64 v[88:89], v[88:89], s[24:25]
	s_clause 0x1
	scratch_load_b64 v[213:214], off, off offset:408
	scratch_load_b64 v[228:229], off, off offset:440
	v_add_f64 v[54:55], v[148:149], v[54:55]
	v_mul_f64 v[148:149], v[44:45], s[34:35]
	v_add_f64 v[40:41], v[152:153], v[40:41]
	v_mul_f64 v[152:153], v[44:45], s[8:9]
	v_add_f64 v[150:151], v[150:151], v[204:205]
	v_add_f64 v[70:71], v[96:97], v[70:71]
	;; [unrolled: 1-line block ×3, first 2 shown]
	v_fma_f64 v[156:157], v[116:117], s[38:39], v[90:91]
	v_fma_f64 v[124:125], v[52:53], s[46:47], v[148:149]
	;; [unrolled: 1-line block ×3, first 2 shown]
	v_add_f64 v[62:63], v[62:63], v[150:151]
	v_fma_f64 v[150:151], v[116:117], s[46:47], v[174:175]
	v_add_f64 v[60:61], v[156:157], v[60:61]
	v_mul_f64 v[156:157], v[44:45], s[28:29]
	s_delay_alu instid0(VALU_DEP_3) | instskip(NEXT) | instid1(VALU_DEP_2)
	v_add_f64 v[62:63], v[150:151], v[62:63]
	v_fma_f64 v[122:123], v[52:53], s[44:45], v[156:157]
	s_waitcnt vmcnt(6)
	v_add_f64 v[220:221], v[220:221], v[234:235]
	s_waitcnt vmcnt(5)
	v_add_f64 v[142:143], v[36:37], v[114:115]
	scratch_load_b64 v[36:37], off, off offset:200 ; 8-byte Folded Reload
	s_waitcnt vmcnt(5)
	v_add_f64 v[74:75], v[74:75], v[198:199]
	s_waitcnt vmcnt(4)
	v_add_f64 v[72:73], v[72:73], v[38:39]
	v_add_f64 v[154:155], v[154:155], -v[38:39]
	s_waitcnt vmcnt(2)
	v_add_f64 v[162:163], v[106:107], v[213:214]
	v_add_f64 v[158:159], v[158:159], v[220:221]
	s_delay_alu instid0(VALU_DEP_2)
	v_mul_f64 v[112:113], v[162:163], s[20:21]
	v_mul_f64 v[146:147], v[162:163], s[34:35]
	;; [unrolled: 1-line block ×6, first 2 shown]
	v_add_f64 v[108:109], v[108:109], v[158:159]
	s_waitcnt vmcnt(0)
	v_add_f64 v[66:67], v[66:67], v[36:37]
	scratch_load_b64 v[37:38], off, off offset:384 ; 8-byte Folded Reload
	v_lshrrev_b32_e32 v36, 1, v255
	s_delay_alu instid0(VALU_DEP_1) | instskip(NEXT) | instid1(VALU_DEP_1)
	v_mul_lo_u32 v36, v36, 26
	v_or_b32_e32 v36, v36, v216
	s_delay_alu instid0(VALU_DEP_1)
	v_lshl_add_u32 v36, v36, 3, 0
	s_waitcnt vmcnt(0)
	v_add_f64 v[72:73], v[72:73], v[37:38]
	v_add_f64 v[164:165], v[164:165], -v[37:38]
	scratch_load_b64 v[37:38], off, off offset:296 ; 8-byte Folded Reload
	v_add_f64 v[72:73], v[72:73], v[34:35]
	scratch_load_b64 v[34:35], off, off offset:480 ; 8-byte Folded Reload
	s_waitcnt vmcnt(0)
	v_add_f64 v[26:27], v[34:35], v[26:27]
	scratch_load_b64 v[34:35], off, off offset:464 ; 8-byte Folded Reload
	s_waitcnt vmcnt(0)
	;; [unrolled: 3-line block ×3, first 2 shown]
	v_add_f64 v[10:11], v[34:35], v[10:11]
	scratch_load_b64 v[34:35], off, off offset:424 ; 8-byte Folded Reload
	v_add_f64 v[104:105], v[37:38], v[104:105]
	scratch_load_b64 v[37:38], off, off offset:288 ; 8-byte Folded Reload
	s_waitcnt vmcnt(1)
	v_add_f64 v[14:15], v[34:35], v[14:15]
	scratch_load_b64 v[34:35], off, off offset:416 ; 8-byte Folded Reload
	s_waitcnt vmcnt(1)
	v_add_f64 v[92:93], v[37:38], v[92:93]
	scratch_load_b64 v[37:38], off, off offset:496 ; 8-byte Folded Reload
	ds_store_b64 v215, v[92:93] offset:192
	v_fma_f64 v[92:93], v[154:155], s[30:31], v[146:147]
	s_waitcnt vmcnt(1)
	v_add_f64 v[8:9], v[34:35], v[8:9]
	s_waitcnt vmcnt(0)
	v_add_f64 v[20:21], v[37:38], v[20:21]
	scratch_load_b64 v[37:38], off, off offset:168 ; 8-byte Folded Reload
	v_add_f64 v[138:139], v[172:173], v[192:193]
	v_add_f64 v[172:173], v[140:141], v[228:229]
	s_delay_alu instid0(VALU_DEP_2)
	v_mul_f64 v[106:107], v[138:139], s[16:17]
	v_mul_f64 v[166:167], v[138:139], s[24:25]
	;; [unrolled: 1-line block ×6, first 2 shown]
	v_fma_f64 v[140:141], v[164:165], s[38:39], v[106:107]
	v_fma_f64 v[178:179], v[164:165], s[40:41], v[166:167]
	;; [unrolled: 1-line block ×11, first 2 shown]
	v_add_f64 v[34:35], v[178:179], v[100:101]
	v_fma_f64 v[100:101], v[154:155], s[40:41], v[120:121]
	s_delay_alu instid0(VALU_DEP_3)
	v_add_f64 v[76:77], v[138:139], v[76:77]
	v_mul_f64 v[138:139], v[172:173], s[20:21]
	s_waitcnt vmcnt(0)
	v_add_f64 v[30:31], v[30:31], v[37:38]
	v_add_f64 v[37:38], v[166:167], v[80:81]
	;; [unrolled: 1-line block ×3, first 2 shown]
	v_fma_f64 v[114:115], v[154:155], s[14:15], v[126:127]
	v_fma_f64 v[84:85], v[154:155], s[36:37], v[112:113]
	ds_store_2addr_b64 v215, v[30:31], v[104:105] offset1:2
	ds_store_2addr_b64 v36, v[72:73], v[2:3] offset1:2
	ds_store_2addr_b64 v36, v[4:5], v[6:7] offset0:4 offset1:6
	ds_store_2addr_b64 v36, v[20:21], v[24:25] offset0:8 offset1:10
	v_fma_f64 v[30:31], v[164:165], s[14:15], v[106:107]
	v_fma_f64 v[4:5], v[32:33], s[18:19], v[202:203]
	;; [unrolled: 1-line block ×4, first 2 shown]
	v_add_f64 v[24:25], v[96:97], v[78:79]
	v_add_f64 v[32:33], v[140:141], v[70:71]
	;; [unrolled: 1-line block ×6, first 2 shown]
	v_fma_f64 v[86:87], v[154:155], s[46:47], v[146:147]
	v_fma_f64 v[96:97], v[154:155], s[22:23], v[120:121]
	;; [unrolled: 1-line block ×7, first 2 shown]
	v_add_f64 v[126:127], v[188:189], -v[230:231]
	v_mul_f64 v[130:131], v[172:173], s[28:29]
	v_mul_f64 v[134:135], v[172:173], s[8:9]
	;; [unrolled: 1-line block ×4, first 2 shown]
	v_fma_f64 v[162:163], v[48:49], s[14:15], v[46:47]
	v_fma_f64 v[46:47], v[48:49], s[38:39], v[46:47]
	v_add_f64 v[37:38], v[92:93], v[37:38]
	v_fma_f64 v[132:133], v[116:117], s[30:31], v[174:175]
	s_clause 0x1
	scratch_load_b64 v[2:3], off, off offset:176
	scratch_load_b64 v[164:165], off, off offset:360
	ds_store_2addr_b64 v36, v[26:27], v[18:19] offset0:12 offset1:14
	ds_store_2addr_b64 v36, v[14:15], v[10:11] offset0:16 offset1:18
	;; [unrolled: 1-line block ×3, first 2 shown]
	ds_store_b64 v36, v[0:1] offset:192
	v_add_f64 v[8:9], v[124:125], v[54:55]
	v_add_f64 v[18:19], v[160:161], v[40:41]
	scratch_load_b64 v[14:15], off, off offset:136 ; 8-byte Folded Reload
	s_waitcnt vmcnt(0) lgkmcnt(0)
	s_waitcnt_vscnt null, 0x0
	s_barrier
	buffer_gl0_inv
	scratch_load_b32 v211, off, off offset:92 ; 4-byte Folded Reload
	v_add_f64 v[4:5], v[4:5], v[142:143]
	v_add_f64 v[6:7], v[6:7], v[66:67]
	v_fma_f64 v[142:143], v[116:117], s[40:41], v[88:89]
	v_add_f64 v[24:25], v[30:31], v[24:25]
	v_fma_f64 v[30:31], v[154:155], s[18:19], v[112:113]
	v_add_f64 v[112:113], v[184:185], -v[217:218]
	v_add_f64 v[32:33], v[84:85], v[32:33]
	v_fma_f64 v[88:89], v[116:117], s[22:23], v[88:89]
	v_fma_f64 v[154:155], v[116:117], s[42:43], v[176:177]
	v_add_f64 v[34:35], v[86:87], v[34:35]
	v_add_f64 v[42:43], v[96:97], v[42:43]
	v_add_f64 v[66:67], v[102:103], v[70:71]
	v_add_f64 v[70:71], v[106:107], v[78:79]
	v_add_f64 v[76:77], v[120:121], v[76:77]
	v_fma_f64 v[92:93], v[126:127], s[36:37], v[138:139]
	v_fma_f64 v[96:97], v[126:127], s[18:19], v[138:139]
	v_fma_f64 v[86:87], v[126:127], s[42:43], v[134:135]
	v_fma_f64 v[84:85], v[126:127], s[6:7], v[134:135]
	v_fma_f64 v[106:107], v[126:127], s[38:39], v[146:147]
	v_fma_f64 v[102:103], v[126:127], s[46:47], v[140:141]
	v_mul_f64 v[120:121], v[44:45], s[16:17]
	v_mul_f64 v[134:135], v[44:45], s[24:25]
	v_add_f64 v[16:17], v[162:163], v[16:17]
	v_add_f64 v[28:29], v[46:47], v[28:29]
	v_mul_f64 v[44:45], v[44:45], s[20:21]
	v_add_f64 v[64:65], v[132:133], v[64:65]
	v_add_f64 v[24:25], v[30:31], v[24:25]
	;; [unrolled: 1-line block ×8, first 2 shown]
	v_fma_f64 v[88:89], v[52:53], s[18:19], v[44:45]
	v_fma_f64 v[44:45], v[52:53], s[36:37], v[44:45]
	s_delay_alu instid0(VALU_DEP_2) | instskip(NEXT) | instid1(VALU_DEP_2)
	v_add_f64 v[16:17], v[88:89], v[16:17]
	v_add_f64 v[54:55], v[44:45], v[28:29]
	;; [unrolled: 1-line block ×7, first 2 shown]
	v_mul_f64 v[128:129], v[172:173], s[24:25]
	v_fma_f64 v[136:137], v[116:117], s[6:7], v[176:177]
	v_add_f64 v[14:15], v[22:23], v[14:15]
	v_add_f64 v[22:23], v[122:123], v[60:61]
	;; [unrolled: 1-line block ×3, first 2 shown]
	v_fma_f64 v[20:21], v[48:49], s[22:23], v[50:51]
	v_fma_f64 v[50:51], v[48:49], s[44:45], v[56:57]
	;; [unrolled: 1-line block ×3, first 2 shown]
	v_add_f64 v[56:57], v[74:75], v[228:229]
	v_add_f64 v[58:59], v[100:101], v[68:69]
	;; [unrolled: 1-line block ×5, first 2 shown]
	v_fma_f64 v[80:81], v[126:127], s[26:27], v[130:131]
	v_fma_f64 v[82:83], v[126:127], s[44:45], v[130:131]
	v_fma_f64 v[100:101], v[126:127], s[30:31], v[140:141]
	v_fma_f64 v[104:105], v[126:127], s[14:15], v[146:147]
	v_mul_f64 v[118:119], v[164:165], s[20:21]
	v_mul_f64 v[130:131], v[164:165], s[16:17]
	v_add_f64 v[146:147], v[194:195], v[198:199]
	v_fma_f64 v[78:79], v[126:127], s[40:41], v[128:129]
	v_mul_f64 v[114:115], v[164:165], s[28:29]
	v_mul_f64 v[138:139], v[164:165], s[34:35]
	;; [unrolled: 1-line block ×4, first 2 shown]
	v_fma_f64 v[30:31], v[126:127], s[22:23], v[128:129]
	v_fma_f64 v[128:129], v[52:53], s[14:15], v[120:121]
	scratch_load_b32 v199, off, off offset:84 ; 4-byte Folded Reload
	v_add_f64 v[110:111], v[136:137], v[110:111]
	v_add_f64 v[4:5], v[20:21], v[4:5]
	;; [unrolled: 1-line block ×4, first 2 shown]
	v_fma_f64 v[20:21], v[116:117], s[26:27], v[94:95]
	v_fma_f64 v[48:49], v[116:117], s[36:37], v[98:99]
	;; [unrolled: 1-line block ×3, first 2 shown]
	v_add_f64 v[56:57], v[56:57], v[213:214]
	v_add_f64 v[58:59], v[86:87], v[58:59]
	;; [unrolled: 1-line block ×5, first 2 shown]
	v_add_f64 v[100:101], v[206:207], -v[209:210]
	v_fma_f64 v[80:81], v[112:113], s[18:19], v[118:119]
	v_fma_f64 v[86:87], v[112:113], s[14:15], v[130:131]
	v_mul_f64 v[106:107], v[146:147], s[28:29]
	v_add_f64 v[32:33], v[78:79], v[32:33]
	v_add_f64 v[68:69], v[96:97], v[68:69]
	v_fma_f64 v[78:79], v[112:113], s[44:45], v[114:115]
	v_fma_f64 v[82:83], v[112:113], s[36:37], v[118:119]
	;; [unrolled: 1-line block ×10, first 2 shown]
	v_add_f64 v[24:25], v[30:31], v[24:25]
	v_fma_f64 v[30:31], v[112:113], s[26:27], v[114:115]
	v_fma_f64 v[112:113], v[52:53], s[38:39], v[120:121]
	;; [unrolled: 1-line block ×3, first 2 shown]
	s_clause 0x1
	scratch_load_b32 v139, off, off offset:76
	scratch_load_b32 v138, off, off offset:68
	v_add_f64 v[72:73], v[102:103], v[72:73]
	v_add_f64 v[74:75], v[104:105], v[74:75]
	v_mul_f64 v[104:105], v[146:147], s[8:9]
	v_mul_f64 v[116:117], v[146:147], s[16:17]
	v_mul_f64 v[118:119], v[146:147], s[24:25]
	v_mul_f64 v[102:103], v[146:147], s[34:35]
	v_mul_f64 v[126:127], v[146:147], s[20:21]
	v_add_f64 v[4:5], v[20:21], v[4:5]
	v_add_f64 v[6:7], v[48:49], v[6:7]
	;; [unrolled: 1-line block ×3, first 2 shown]
	v_fma_f64 v[20:21], v[52:53], s[30:31], v[148:149]
	v_fma_f64 v[48:49], v[52:53], s[42:43], v[152:153]
	;; [unrolled: 1-line block ×3, first 2 shown]
	v_add_f64 v[52:53], v[56:57], v[192:193]
	v_add_f64 v[34:35], v[80:81], v[34:35]
	;; [unrolled: 1-line block ×3, first 2 shown]
	v_fma_f64 v[80:81], v[100:101], s[44:45], v[106:107]
	v_fma_f64 v[106:107], v[100:101], s[26:27], v[106:107]
	v_add_f64 v[32:33], v[78:79], v[32:33]
	v_add_f64 v[37:38], v[82:83], v[37:38]
	;; [unrolled: 1-line block ×11, first 2 shown]
	scratch_load_b32 v115, off, off offset:4 ; 4-byte Folded Reload
	v_add_f64 v[64:65], v[112:113], v[62:63]
	v_add_f64 v[70:71], v[96:97], v[72:73]
	;; [unrolled: 1-line block ×3, first 2 shown]
	v_fma_f64 v[76:77], v[100:101], s[6:7], v[104:105]
	v_fma_f64 v[78:79], v[100:101], s[42:43], v[104:105]
	;; [unrolled: 1-line block ×10, first 2 shown]
	v_add_f64 v[100:101], v[48:49], v[6:7]
	v_add_f64 v[110:111], v[50:51], v[2:3]
	v_add_f64 v[20:21], v[20:21], v[4:5]
	v_and_b32_e32 v4, 0xff, v255
	v_add_f64 v[52:53], v[52:53], v[222:223]
	s_waitcnt vmcnt(4)
	ds_load_b64 v[102:103], v211
	v_add_f64 v[56:57], v[106:107], v[56:57]
	s_clause 0x1
	scratch_load_b32 v106, off, off offset:8
	scratch_load_b32 v120, off, off
	v_mul_lo_u16 v4, 0x4f, v4
	v_add_f64 v[76:77], v[76:77], v[34:35]
	v_add_f64 v[37:38], v[78:79], v[37:38]
	v_add_f64 v[78:79], v[80:81], v[42:43]
	v_add_f64 v[66:67], v[84:85], v[66:67]
	v_add_f64 v[80:81], v[86:87], v[68:69]
	v_add_f64 v[84:85], v[104:105], v[70:71]
	v_add_f64 v[74:75], v[74:75], v[32:33]
	v_add_f64 v[72:73], v[96:97], v[72:73]
	v_add_f64 v[10:11], v[12:13], v[10:11]
	v_add_f64 v[58:59], v[82:83], v[58:59]
	v_add_f64 v[82:83], v[98:99], v[46:47]
	v_lshrrev_b16 v12, 11, v4
	s_waitcnt vmcnt(5)
	ds_load_b64 v[90:91], v199
	s_waitcnt vmcnt(4)
	ds_load_b64 v[94:95], v139
	;; [unrolled: 2-line block ×5, first 2 shown]
	ds_load_b64 v[126:127], v106
	ds_load_b64 v[108:109], v201 offset:10400
	s_clause 0x1
	scratch_load_b32 v195, off, off offset:60
	scratch_load_b32 v198, off, off offset:64
	ds_load_2addr_b64 v[0:3], v201 offset1:156
	s_waitcnt vmcnt(1)
	ds_load_2addr_b64 v[48:51], v195 offset0:164 offset1:216
	s_waitcnt vmcnt(0)
	ds_load_2addr_b64 v[44:47], v198 offset0:12 offset1:64
	ds_load_2addr_b64 v[40:43], v198 offset0:116 offset1:168
	s_clause 0x1
	scratch_load_b32 v143, off, off offset:56
	scratch_load_b32 v142, off, off offset:44
	scratch_store_b32 off, v12, off offset:104 ; 4-byte Folded Spill
	v_mul_lo_u16 v12, v12, 26
	s_waitcnt vmcnt(1)
	ds_load_2addr_b64 v[28:31], v143 offset0:92 offset1:144
	s_waitcnt vmcnt(0)
	ds_load_2addr_b64 v[32:35], v142 offset0:68 offset1:120
	ds_load_2addr_b64 v[4:7], v142 offset0:172 offset1:224
	s_clause 0x1
	scratch_load_b32 v112, off, off offset:12
	scratch_load_b32 v188, off, off offset:48
	s_waitcnt vmcnt(1)
	ds_load_2addr_b64 v[68:71], v112 offset0:4 offset1:108
	s_waitcnt vmcnt(0)
	ds_load_2addr_b64 v[60:63], v188 offset0:84 offset1:188
	s_waitcnt lgkmcnt(0)
	s_waitcnt_vscnt null, 0x0
	s_barrier
	buffer_gl0_inv
	ds_store_2addr_b64 v215, v[14:15], v[8:9] offset1:2
	v_sub_nc_u16 v8, v255, v12
	ds_store_2addr_b64 v215, v[18:19], v[22:23] offset0:4 offset1:6
	ds_store_2addr_b64 v215, v[24:25], v[26:27] offset0:8 offset1:10
	;; [unrolled: 1-line block ×5, first 2 shown]
	v_and_b32_e32 v9, 0xff, v8
	v_subrev_nc_u32_e32 v8, 26, v208
	scratch_store_b32 off, v9, off offset:112 ; 4-byte Folded Spill
	ds_store_b64 v215, v[20:21] offset:192
	ds_store_2addr_b64 v36, v[52:53], v[74:75] offset1:2
	ds_store_2addr_b64 v36, v[76:77], v[78:79] offset0:4 offset1:6
	scratch_store_b32 off, v8, off offset:128 ; 4-byte Folded Spill
	v_cndmask_b32_e64 v8, v8, v208, s0
	v_mul_u32_u24_e32 v12, 12, v9
	v_mov_b32_e32 v9, 0
	scratch_store_b32 off, v8, off offset:120 ; 4-byte Folded Spill
	v_mul_i32_i24_e32 v8, 12, v8
	v_lshlrev_b32_e32 v52, 4, v12
	ds_store_2addr_b64 v36, v[58:59], v[80:81] offset0:8 offset1:10
	ds_store_2addr_b64 v36, v[72:73], v[82:83] offset0:12 offset1:14
	;; [unrolled: 1-line block ×4, first 2 shown]
	ds_store_b64 v36, v[10:11] offset:192
	s_waitcnt lgkmcnt(0)
	s_waitcnt_vscnt null, 0x0
	s_barrier
	buffer_gl0_inv
	v_lshlrev_b64 v[8:9], 4, v[8:9]
	global_load_b128 v[36:39], v52, s[4:5] offset:400
	v_add_co_u32 v8, s1, s4, v8
	s_delay_alu instid0(VALU_DEP_1)
	v_add_co_ci_u32_e64 v9, s1, s5, v9, s1
	v_cmp_lt_u32_e64 s1, 25, v208
	s_clause 0x16
	global_load_b128 v[74:77], v52, s[4:5] offset:416
	global_load_b128 v[96:99], v[8:9], off offset:560
	global_load_b128 v[78:81], v[8:9], off offset:384
	;; [unrolled: 1-line block ×10, first 2 shown]
	global_load_b128 v[160:163], v52, s[4:5] offset:432
	global_load_b128 v[164:167], v52, s[4:5] offset:448
	global_load_b128 v[168:171], v[8:9], off offset:480
	global_load_b128 v[172:175], v52, s[4:5] offset:464
	global_load_b128 v[176:179], v52, s[4:5] offset:480
	;; [unrolled: 1-line block ×6, first 2 shown]
	global_load_b128 v[24:27], v[8:9], off offset:464
	global_load_b128 v[12:15], v52, s[4:5] offset:560
	global_load_b128 v[8:11], v52, s[4:5] offset:384
	ds_load_2addr_b64 v[110:113], v112 offset0:4 offset1:108
	ds_load_b64 v[88:89], v120
	ds_load_b64 v[100:101], v115
	ds_load_b64 v[64:65], v106
	ds_load_b64 v[128:129], v139
	ds_load_b64 v[138:139], v138
	ds_load_2addr_b64 v[216:219], v188 offset0:84 offset1:188
	ds_load_2addr_b64 v[52:55], v142 offset0:172 offset1:224
	ds_load_2addr_b64 v[220:223], v198 offset0:116 offset1:168
	ds_load_b64 v[199:200], v199
	ds_load_2addr_b64 v[224:227], v143 offset0:92 offset1:144
	ds_load_b64 v[106:107], v211
	ds_load_2addr_b64 v[228:231], v195 offset0:164 offset1:216
	ds_load_2addr_b64 v[56:59], v142 offset0:68 offset1:120
	;; [unrolled: 1-line block ×3, first 2 shown]
	s_waitcnt vmcnt(22) lgkmcnt(14)
	v_mul_f64 v[72:73], v[112:113], v[76:77]
	v_mul_f64 v[76:77], v[70:71], v[76:77]
	s_waitcnt vmcnt(21)
	v_mul_f64 v[114:115], v[6:7], v[98:99]
	s_waitcnt lgkmcnt(7)
	v_mul_f64 v[98:99], v[54:55], v[98:99]
	s_waitcnt vmcnt(20)
	v_mul_f64 v[120:121], v[104:105], v[80:81]
	v_mul_f64 v[80:81], v[88:89], v[80:81]
	s_waitcnt vmcnt(19)
	v_mul_f64 v[146:147], v[100:101], v[84:85]
	;; [unrolled: 3-line block ×3, first 2 shown]
	s_waitcnt vmcnt(17)
	v_mul_f64 v[191:192], v[94:95], v[118:119]
	v_mul_f64 v[118:119], v[128:129], v[118:119]
	s_waitcnt vmcnt(16)
	v_mul_f64 v[193:194], v[30:31], v[132:133]
	s_waitcnt lgkmcnt(4)
	v_mul_f64 v[132:133], v[226:227], v[132:133]
	s_waitcnt vmcnt(15)
	v_mul_f64 v[202:203], v[42:43], v[136:137]
	v_mul_f64 v[136:137], v[222:223], v[136:137]
	s_waitcnt vmcnt(14)
	v_mul_f64 v[204:205], v[92:93], v[150:151]
	v_mul_f64 v[150:151], v[138:139], v[150:151]
	s_waitcnt vmcnt(13)
	v_mul_f64 v[206:207], v[46:47], v[154:155]
	s_waitcnt lgkmcnt(0)
	v_mul_f64 v[154:155], v[234:235], v[154:155]
	v_mul_f64 v[66:67], v[110:111], v[38:39]
	;; [unrolled: 1-line block ×3, first 2 shown]
	s_waitcnt vmcnt(12)
	v_mul_f64 v[209:210], v[90:91], v[158:159]
	v_mul_f64 v[158:159], v[199:200], v[158:159]
	s_waitcnt vmcnt(11)
	v_mul_f64 v[211:212], v[216:217], v[162:163]
	v_fma_f64 v[72:73], v[70:71], v[74:75], v[72:73]
	v_fma_f64 v[74:75], v[112:113], v[74:75], -v[76:77]
	v_fma_f64 v[54:55], v[54:55], v[96:97], -v[114:115]
	;; [unrolled: 1-line block ×3, first 2 shown]
	v_fma_f64 v[112:113], v[104:105], v[78:79], v[80:81]
	v_mul_f64 v[104:105], v[60:61], v[162:163]
	s_waitcnt vmcnt(10)
	v_mul_f64 v[162:163], v[218:219], v[166:167]
	v_fma_f64 v[114:115], v[86:87], v[82:83], v[146:147]
	v_mul_f64 v[146:147], v[58:59], v[124:125]
	v_fma_f64 v[78:79], v[100:101], v[82:83], -v[84:85]
	v_fma_f64 v[124:125], v[6:7], v[96:97], v[98:99]
	s_waitcnt vmcnt(4)
	v_mul_f64 v[98:99], v[56:57], v[22:23]
	v_mul_f64 v[100:101], v[62:63], v[166:167]
	;; [unrolled: 1-line block ×3, first 2 shown]
	s_waitcnt vmcnt(0)
	v_mul_f64 v[6:7], v[2:3], v[10:11]
	v_mul_f64 v[170:171], v[50:51], v[170:171]
	v_fma_f64 v[58:59], v[58:59], v[122:123], -v[188:189]
	v_mul_f64 v[188:189], v[228:229], v[174:175]
	v_mul_f64 v[174:175], v[48:49], v[174:175]
	v_fma_f64 v[82:83], v[128:129], v[116:117], -v[191:192]
	v_fma_f64 v[118:119], v[94:95], v[116:117], v[118:119]
	v_mul_f64 v[94:95], v[232:233], v[178:179]
	v_mul_f64 v[178:179], v[44:45], v[178:179]
	;; [unrolled: 1-line block ×3, first 2 shown]
	v_fma_f64 v[70:71], v[222:223], v[134:135], -v[202:203]
	v_fma_f64 v[128:129], v[42:43], v[134:135], v[136:137]
	v_mul_f64 v[136:137], v[106:107], v[26:27]
	v_fma_f64 v[84:85], v[138:139], v[148:149], -v[204:205]
	v_fma_f64 v[120:121], v[92:93], v[148:149], v[150:151]
	v_mul_f64 v[150:151], v[224:225], v[186:187]
	v_mul_f64 v[148:149], v[40:41], v[182:183]
	;; [unrolled: 1-line block ×4, first 2 shown]
	v_fma_f64 v[80:81], v[234:235], v[152:153], -v[206:207]
	v_fma_f64 v[140:141], v[68:69], v[36:37], v[66:67]
	v_fma_f64 v[66:67], v[110:111], v[36:37], -v[38:39]
	ds_load_b64 v[110:111], v201 offset:10400
	ds_load_2addr_b64 v[36:39], v201 offset1:156
	v_fma_f64 v[68:69], v[226:227], v[130:131], -v[193:194]
	v_fma_f64 v[86:87], v[199:200], v[156:157], -v[209:210]
	v_fma_f64 v[116:117], v[90:91], v[156:157], v[158:159]
	v_mul_f64 v[156:157], v[32:33], v[22:23]
	v_mul_f64 v[158:159], v[52:53], v[18:19]
	v_fma_f64 v[130:131], v[30:31], v[130:131], v[132:133]
	v_mul_f64 v[193:194], v[102:103], v[26:27]
	v_fma_f64 v[60:61], v[60:61], v[160:161], v[211:212]
	scratch_store_b64 off, v[54:55], off offset:68 ; 8-byte Folded Spill
	v_add_f64 v[138:139], v[88:89], -v[54:55]
	v_fma_f64 v[62:63], v[62:63], v[164:165], v[162:163]
	v_fma_f64 v[132:133], v[34:35], v[122:123], v[146:147]
	;; [unrolled: 1-line block ×4, first 2 shown]
	v_fma_f64 v[46:47], v[218:219], v[164:165], -v[100:101]
	v_fma_f64 v[134:135], v[50:51], v[168:169], v[166:167]
	scratch_store_b64 off, v[58:59], off offset:76 ; 8-byte Folded Spill
	v_fma_f64 v[169:170], v[230:231], v[168:169], -v[170:171]
	s_waitcnt lgkmcnt(1)
	v_mul_f64 v[18:19], v[110:111], v[14:15]
	v_mul_f64 v[14:15], v[108:109], v[14:15]
	s_waitcnt lgkmcnt(0)
	v_mul_f64 v[22:23], v[38:39], v[10:11]
	v_add_f64 v[10:11], v[78:79], -v[58:59]
	v_fma_f64 v[58:59], v[216:217], v[160:161], -v[104:105]
	v_fma_f64 v[90:91], v[48:49], v[172:173], v[188:189]
	v_fma_f64 v[48:49], v[228:229], v[172:173], -v[174:175]
	v_fma_f64 v[38:39], v[38:39], v[8:9], -v[6:7]
	v_fma_f64 v[92:93], v[44:45], v[176:177], v[94:95]
	v_fma_f64 v[50:51], v[232:233], v[176:177], -v[178:179]
	v_fma_f64 v[94:95], v[40:41], v[180:181], v[191:192]
	v_fma_f64 v[136:137], v[102:103], v[24:25], v[136:137]
	scratch_store_b64 off, v[70:71], off offset:92 ; 8-byte Folded Spill
	v_fma_f64 v[96:97], v[28:29], v[184:185], v[150:151]
	v_add_f64 v[28:29], v[112:113], v[124:125]
	v_add_f64 v[30:31], v[84:85], -v[70:71]
	v_fma_f64 v[44:45], v[220:221], v[180:181], -v[148:149]
	v_fma_f64 v[76:77], v[224:225], v[184:185], -v[182:183]
	;; [unrolled: 1-line block ×3, first 2 shown]
	s_clause 0x1
	scratch_store_b64 off, v[66:67], off offset:48
	scratch_store_b64 off, v[68:69], off offset:84
	v_add_f64 v[26:27], v[82:83], -v[68:69]
	v_add_f64 v[34:35], v[86:87], -v[80:81]
	v_fma_f64 v[56:57], v[56:57], v[20:21], -v[156:157]
	v_fma_f64 v[104:105], v[4:5], v[16:17], v[158:159]
	v_mov_b32_e32 v40, v140
	v_fma_f64 v[106:107], v[106:107], v[24:25], -v[193:194]
	v_mov_b32_e32 v41, v141
	v_mul_f64 v[32:33], v[138:139], s[14:15]
	v_mul_f64 v[100:101], v[138:139], s[18:19]
	;; [unrolled: 1-line block ×6, first 2 shown]
	v_add_f64 v[16:17], v[116:117], v[122:123]
	v_fma_f64 v[108:109], v[108:109], v[12:13], v[18:19]
	v_fma_f64 v[102:103], v[110:111], v[12:13], -v[14:15]
	v_fma_f64 v[110:111], v[2:3], v[8:9], v[22:23]
	v_add_f64 v[2:3], v[114:115], v[132:133]
	v_add_f64 v[12:13], v[118:119], v[130:131]
	;; [unrolled: 1-line block ×4, first 2 shown]
	v_mul_f64 v[18:19], v[10:11], s[22:23]
	v_mul_f64 v[20:21], v[10:11], s[30:31]
	;; [unrolled: 1-line block ×10, first 2 shown]
	v_add_f64 v[247:248], v[66:67], -v[52:53]
	v_mul_f64 v[22:23], v[26:27], s[30:31]
	v_mul_f64 v[24:25], v[26:27], s[40:41]
	;; [unrolled: 1-line block ×12, first 2 shown]
	v_add_f64 v[249:250], v[140:141], v[104:105]
	v_fma_f64 v[179:180], v[28:29], s[16:17], v[32:33]
	v_fma_f64 v[181:182], v[28:29], s[20:21], v[100:101]
	;; [unrolled: 1-line block ×5, first 2 shown]
	v_fma_f64 v[150:151], v[28:29], s[34:35], -v[150:151]
	v_fma_f64 v[146:147], v[28:29], s[24:25], -v[146:147]
	;; [unrolled: 1-line block ×5, first 2 shown]
	v_fma_f64 v[191:192], v[28:29], s[8:9], v[4:5]
	v_fma_f64 v[4:5], v[28:29], s[8:9], -v[4:5]
	v_mul_f64 v[28:29], v[30:31], s[38:39]
	v_mul_f64 v[30:31], v[30:31], s[22:23]
	v_add_f64 v[8:9], v[8:9], v[114:115]
	v_fma_f64 v[199:200], v[2:3], s[24:25], v[18:19]
	v_fma_f64 v[202:203], v[2:3], s[34:35], v[20:21]
	;; [unrolled: 1-line block ×5, first 2 shown]
	v_fma_f64 v[177:178], v[2:3], s[8:9], -v[177:178]
	v_fma_f64 v[158:159], v[2:3], s[28:29], -v[158:159]
	;; [unrolled: 1-line block ×5, first 2 shown]
	v_fma_f64 v[237:238], v[2:3], s[16:17], v[10:11]
	v_fma_f64 v[2:3], v[2:3], s[16:17], -v[10:11]
	v_fma_f64 v[209:210], v[14:15], s[28:29], v[138:139]
	v_fma_f64 v[211:212], v[14:15], s[8:9], v[152:153]
	v_fma_f64 v[225:226], v[14:15], s[20:21], v[166:167]
	v_fma_f64 v[227:228], v[14:15], s[34:35], v[171:172]
	v_fma_f64 v[166:167], v[14:15], s[20:21], -v[166:167]
	v_fma_f64 v[171:172], v[14:15], s[34:35], -v[171:172]
	;; [unrolled: 1-line block ×4, first 2 shown]
	v_mul_f64 v[251:252], v[247:248], s[14:15]
	v_mul_f64 v[54:55], v[247:248], s[22:23]
	v_mul_f64 v[70:71], v[247:248], s[30:31]
	v_fma_f64 v[204:205], v[12:13], s[34:35], v[22:23]
	v_fma_f64 v[206:207], v[12:13], s[24:25], v[24:25]
	;; [unrolled: 1-line block ×9, first 2 shown]
	v_fma_f64 v[6:7], v[12:13], s[28:29], -v[6:7]
	v_fma_f64 v[162:163], v[12:13], s[8:9], -v[162:163]
	;; [unrolled: 1-line block ×5, first 2 shown]
	v_fma_f64 v[10:11], v[12:13], s[20:21], v[26:27]
	v_fma_f64 v[12:13], v[12:13], s[20:21], -v[26:27]
	v_fma_f64 v[173:174], v[16:17], s[34:35], -v[173:174]
	;; [unrolled: 1-line block ×5, first 2 shown]
	v_fma_f64 v[239:240], v[16:17], s[28:29], v[34:35]
	v_add_f64 v[8:9], v[8:9], v[118:119]
	v_add_f64 v[179:180], v[0:1], v[179:180]
	;; [unrolled: 1-line block ×13, first 2 shown]
	v_fma_f64 v[4:5], v[14:15], s[16:17], v[28:29]
	v_fma_f64 v[28:29], v[14:15], s[16:17], -v[28:29]
	v_fma_f64 v[26:27], v[14:15], s[24:25], v[30:31]
	v_fma_f64 v[14:15], v[14:15], s[24:25], -v[30:31]
	;; [unrolled: 2-line block ×3, first 2 shown]
	v_fma_f64 v[16:17], v[16:17], s[28:29], -v[34:35]
	v_fma_f64 v[253:254], v[249:250], s[16:17], v[251:252]
	v_fma_f64 v[66:67], v[249:250], s[24:25], v[54:55]
	v_fma_f64 v[42:43], v[249:250], s[34:35], v[70:71]
	v_fma_f64 v[54:55], v[249:250], s[24:25], -v[54:55]
	v_fma_f64 v[70:71], v[249:250], s[34:35], -v[70:71]
	v_add_f64 v[8:9], v[8:9], v[120:121]
	v_add_f64 v[34:35], v[199:200], v[179:180]
	v_add_f64 v[179:180], v[106:107], -v[169:170]
	v_add_f64 v[181:182], v[202:203], v[181:182]
	v_add_f64 v[199:200], v[136:137], v[134:135]
	;; [unrolled: 1-line block ×10, first 2 shown]
	v_add_f64 v[2:3], v[38:39], -v[102:103]
	v_add_f64 v[20:21], v[20:21], v[100:101]
	v_add_f64 v[191:192], v[237:238], v[191:192]
	;; [unrolled: 1-line block ×4, first 2 shown]
	v_mul_f64 v[202:203], v[179:180], s[42:43]
	v_mul_f64 v[217:218], v[179:180], s[38:39]
	;; [unrolled: 1-line block ×6, first 2 shown]
	v_add_f64 v[6:7], v[6:7], v[150:151]
	v_add_f64 v[146:147], v[162:163], v[146:147]
	;; [unrolled: 1-line block ×5, first 2 shown]
	v_mul_f64 v[243:244], v[2:3], s[6:7]
	v_add_f64 v[20:21], v[24:25], v[20:21]
	v_mul_f64 v[12:13], v[2:3], s[30:31]
	v_mul_f64 v[22:23], v[2:3], s[22:23]
	v_add_f64 v[10:11], v[10:11], v[191:192]
	v_add_f64 v[8:9], v[8:9], v[136:137]
	;; [unrolled: 1-line block ×3, first 2 shown]
	v_fma_f64 v[160:161], v[199:200], s[8:9], v[202:203]
	v_fma_f64 v[32:33], v[199:200], s[16:17], v[217:218]
	;; [unrolled: 1-line block ×4, first 2 shown]
	v_fma_f64 v[177:178], v[199:200], s[20:21], -v[177:178]
	v_fma_f64 v[217:218], v[199:200], s[16:17], -v[217:218]
	;; [unrolled: 1-line block ×4, first 2 shown]
	v_fma_f64 v[237:238], v[199:200], s[28:29], v[158:159]
	v_fma_f64 v[158:159], v[199:200], s[28:29], -v[158:159]
	v_fma_f64 v[241:242], v[199:200], s[34:35], v[179:180]
	v_fma_f64 v[179:180], v[199:200], s[34:35], -v[179:180]
	v_add_f64 v[199:200], v[110:111], v[108:109]
	v_add_f64 v[18:19], v[138:139], v[18:19]
	v_add_f64 v[6:7], v[28:29], v[6:7]
	v_add_f64 v[28:29], v[166:167], v[146:147]
	v_add_f64 v[146:147], v[171:172], v[148:149]
	v_mul_f64 v[138:139], v[247:248], s[44:45]
	v_add_f64 v[20:21], v[152:153], v[20:21]
	v_mul_f64 v[148:149], v[247:248], s[42:43]
	v_mul_f64 v[152:153], v[247:248], s[36:37]
	v_add_f64 v[10:11], v[26:27], v[10:11]
	v_add_f64 v[0:1], v[14:15], v[0:1]
	v_fma_f64 v[171:172], v[249:250], s[16:17], -v[251:252]
	v_add_f64 v[209:210], v[60:61], v[96:97]
	v_add_f64 v[8:9], v[8:9], v[134:135]
	v_add_f64 v[34:35], v[213:214], v[34:35]
	v_fma_f64 v[245:246], v[199:200], s[8:9], v[243:244]
	v_fma_f64 v[24:25], v[199:200], s[34:35], v[12:13]
	v_fma_f64 v[12:13], v[199:200], s[34:35], -v[12:13]
	v_fma_f64 v[150:151], v[199:200], s[24:25], v[22:23]
	v_fma_f64 v[22:23], v[199:200], s[24:25], -v[22:23]
	v_add_f64 v[18:19], v[154:155], v[18:19]
	v_fma_f64 v[26:27], v[249:250], s[28:29], v[138:139]
	v_fma_f64 v[14:15], v[249:250], s[8:9], v[148:149]
	v_fma_f64 v[148:149], v[249:250], s[8:9], -v[148:149]
	v_fma_f64 v[138:139], v[249:250], s[28:29], -v[138:139]
	v_fma_f64 v[166:167], v[249:250], s[20:21], v[152:153]
	v_fma_f64 v[152:153], v[249:250], s[20:21], -v[152:153]
	v_add_f64 v[6:7], v[193:194], v[6:7]
	v_add_f64 v[28:29], v[173:174], v[28:29]
	;; [unrolled: 1-line block ×14, first 2 shown]
	v_mov_b32_e32 v203, v195
	v_add_f64 v[6:7], v[177:178], v[6:7]
	v_add_f64 v[28:29], v[217:218], v[28:29]
	;; [unrolled: 1-line block ×8, first 2 shown]
	v_mul_f64 v[253:254], v[2:3], s[14:15]
	v_add_f64 v[14:15], v[14:15], v[24:25]
	v_add_f64 v[26:27], v[26:27], v[150:151]
	v_add_f64 v[150:151], v[46:47], -v[44:45]
	v_add_f64 v[12:13], v[148:149], v[12:13]
	v_add_f64 v[22:23], v[138:139], v[22:23]
	v_add_f64 v[8:9], v[8:9], v[130:131]
	v_fma_f64 v[189:190], v[199:200], s[16:17], v[253:254]
	v_fma_f64 v[164:165], v[199:200], s[16:17], -v[253:254]
	s_delay_alu instid0(VALU_DEP_3) | instskip(NEXT) | instid1(VALU_DEP_3)
	v_add_f64 v[8:9], v[8:9], v[132:133]
	v_add_f64 v[189:190], v[126:127], v[189:190]
	s_delay_alu instid0(VALU_DEP_3) | instskip(NEXT) | instid1(VALU_DEP_3)
	v_add_f64 v[164:165], v[126:127], v[164:165]
	v_add_f64 v[8:9], v[8:9], v[124:125]
	s_delay_alu instid0(VALU_DEP_3) | instskip(SKIP_3) | instid1(VALU_DEP_3)
	v_add_f64 v[66:67], v[66:67], v[189:190]
	v_mul_f64 v[189:190], v[2:3], s[18:19]
	v_mul_f64 v[2:3], v[2:3], s[26:27]
	v_add_f64 v[54:55], v[54:55], v[164:165]
	v_fma_f64 v[68:69], v[199:200], s[20:21], v[189:190]
	s_delay_alu instid0(VALU_DEP_3) | instskip(SKIP_1) | instid1(VALU_DEP_3)
	v_fma_f64 v[162:163], v[199:200], s[28:29], v[2:3]
	v_fma_f64 v[2:3], v[199:200], s[28:29], -v[2:3]
	v_add_f64 v[68:69], v[126:127], v[68:69]
	s_delay_alu instid0(VALU_DEP_3) | instskip(NEXT) | instid1(VALU_DEP_3)
	v_add_f64 v[162:163], v[126:127], v[162:163]
	v_add_f64 v[2:3], v[126:127], v[2:3]
	s_delay_alu instid0(VALU_DEP_3)
	v_add_f64 v[42:43], v[42:43], v[68:69]
	v_add_f64 v[68:69], v[206:207], v[181:182]
	;; [unrolled: 1-line block ×5, first 2 shown]
	v_dual_mov_b32 v224, v75 :: v_dual_mov_b32 v223, v74
	v_fma_f64 v[187:188], v[199:200], s[20:21], -v[189:190]
	v_fma_f64 v[189:190], v[199:200], s[8:9], -v[243:244]
	v_add_f64 v[199:200], v[72:73], v[98:99]
	v_add_f64 v[162:163], v[166:167], v[162:163]
	v_add_f64 v[191:192], v[223:224], -v[56:57]
	v_add_f64 v[2:3], v[152:153], v[2:3]
	v_add_f64 v[68:69], v[211:212], v[68:69]
	;; [unrolled: 1-line block ×3, first 2 shown]
	v_mov_b32_e32 v226, v59
	v_add_f64 v[4:5], v[4:5], v[185:186]
	v_add_f64 v[183:184], v[227:228], v[183:184]
	v_mov_b32_e32 v228, v77
	v_add_f64 v[187:188], v[126:127], v[187:188]
	v_add_f64 v[189:190], v[126:127], v[189:190]
	;; [unrolled: 1-line block ×3, first 2 shown]
	v_mov_b32_e32 v225, v58
	v_mov_b32_e32 v227, v76
	v_mul_f64 v[204:205], v[191:192], s[18:19]
	v_mul_f64 v[213:214], v[191:192], s[30:31]
	;; [unrolled: 1-line block ×4, first 2 shown]
	v_add_f64 v[185:186], v[225:226], -v[227:228]
	v_add_f64 v[68:69], v[215:216], v[68:69]
	v_add_f64 v[181:182], v[229:230], v[181:182]
	;; [unrolled: 1-line block ×3, first 2 shown]
	v_mul_f64 v[30:31], v[191:192], s[40:41]
	v_mul_f64 v[191:192], v[191:192], s[26:27]
	v_add_f64 v[70:71], v[70:71], v[187:188]
	v_add_f64 v[171:172], v[171:172], v[189:190]
	;; [unrolled: 1-line block ×3, first 2 shown]
	v_fma_f64 v[206:207], v[199:200], s[20:21], v[204:205]
	v_fma_f64 v[166:167], v[199:200], s[34:35], v[213:214]
	v_fma_f64 v[138:139], v[199:200], s[8:9], v[193:194]
	v_fma_f64 v[164:165], v[199:200], s[16:17], v[173:174]
	v_mul_f64 v[211:212], v[185:186], s[22:23]
	v_mul_f64 v[148:149], v[185:186], s[44:45]
	;; [unrolled: 1-line block ×3, first 2 shown]
	v_fma_f64 v[193:194], v[199:200], s[8:9], -v[193:194]
	v_fma_f64 v[173:174], v[199:200], s[16:17], -v[173:174]
	v_fma_f64 v[213:214], v[199:200], s[34:35], -v[213:214]
	v_mul_f64 v[189:190], v[185:186], s[46:47]
	v_add_f64 v[68:69], v[237:238], v[68:69]
	v_add_f64 v[32:33], v[32:33], v[181:182]
	;; [unrolled: 1-line block ×3, first 2 shown]
	v_fma_f64 v[24:25], v[199:200], s[24:25], v[30:31]
	v_fma_f64 v[187:188], v[199:200], s[28:29], v[191:192]
	v_fma_f64 v[191:192], v[199:200], s[28:29], -v[191:192]
	v_fma_f64 v[30:31], v[199:200], s[24:25], -v[30:31]
	;; [unrolled: 1-line block ×3, first 2 shown]
	v_mul_f64 v[204:205], v[185:186], s[18:19]
	v_mul_f64 v[185:186], v[185:186], s[38:39]
	v_add_f64 v[100:101], v[100:101], v[183:184]
	v_add_f64 v[66:67], v[166:167], v[66:67]
	;; [unrolled: 1-line block ×4, first 2 shown]
	v_fma_f64 v[221:222], v[209:210], s[24:25], v[211:212]
	v_add_f64 v[138:139], v[48:49], -v[50:51]
	v_add_f64 v[162:163], v[164:165], v[162:163]
	v_fma_f64 v[164:165], v[209:210], s[28:29], v[148:149]
	v_add_f64 v[22:23], v[193:194], v[22:23]
	v_mul_f64 v[193:194], v[150:151], s[14:15]
	v_add_f64 v[2:3], v[173:174], v[2:3]
	v_add_f64 v[54:55], v[213:214], v[54:55]
	v_fma_f64 v[213:214], v[209:210], s[34:35], v[189:190]
	v_fma_f64 v[189:190], v[209:210], s[34:35], -v[189:190]
	v_fma_f64 v[148:149], v[209:210], s[28:29], -v[148:149]
	v_add_f64 v[206:207], v[206:207], v[245:246]
	v_add_f64 v[24:25], v[24:25], v[42:43]
	v_mul_f64 v[42:43], v[150:151], s[26:27]
	v_add_f64 v[14:15], v[187:188], v[14:15]
	v_fma_f64 v[187:188], v[209:210], s[8:9], v[152:153]
	v_add_f64 v[12:13], v[191:192], v[12:13]
	v_mul_f64 v[191:192], v[150:151], s[36:37]
	v_fma_f64 v[173:174], v[209:210], s[20:21], v[204:205]
	v_add_f64 v[30:31], v[30:31], v[70:71]
	v_fma_f64 v[70:71], v[209:210], s[16:17], v[185:186]
	v_fma_f64 v[185:186], v[209:210], s[16:17], -v[185:186]
	v_fma_f64 v[204:205], v[209:210], s[20:21], -v[204:205]
	;; [unrolled: 1-line block ×4, first 2 shown]
	v_mul_f64 v[211:212], v[150:151], s[46:47]
	v_add_f64 v[171:172], v[199:200], v[171:172]
	v_mul_f64 v[199:200], v[150:151], s[42:43]
	v_mul_f64 v[150:151], v[150:151], s[22:23]
	v_add_f64 v[66:67], v[164:165], v[66:67]
	v_add_f64 v[162:163], v[213:214], v[162:163]
	;; [unrolled: 1-line block ×5, first 2 shown]
	v_fma_f64 v[164:165], v[166:167], s[28:29], v[42:43]
	v_fma_f64 v[42:43], v[166:167], s[28:29], -v[42:43]
	v_add_f64 v[24:25], v[187:188], v[24:25]
	v_add_f64 v[187:188], v[90:91], v[92:93]
	v_fma_f64 v[213:214], v[166:167], s[20:21], v[191:192]
	v_add_f64 v[26:27], v[173:174], v[26:27]
	v_mul_f64 v[173:174], v[138:139], s[30:31]
	v_add_f64 v[14:15], v[70:71], v[14:15]
	v_fma_f64 v[70:71], v[166:167], s[16:17], v[193:194]
	v_add_f64 v[12:13], v[185:186], v[12:13]
	v_mul_f64 v[185:186], v[138:139], s[42:43]
	v_add_f64 v[22:23], v[204:205], v[22:23]
	v_mul_f64 v[204:205], v[138:139], s[26:27]
	v_fma_f64 v[189:190], v[166:167], s[34:35], v[211:212]
	v_fma_f64 v[148:149], v[166:167], s[8:9], v[199:200]
	v_add_f64 v[30:31], v[152:153], v[30:31]
	v_fma_f64 v[152:153], v[166:167], s[24:25], v[150:151]
	v_fma_f64 v[150:151], v[166:167], s[24:25], -v[150:151]
	v_fma_f64 v[211:212], v[166:167], s[34:35], -v[211:212]
	;; [unrolled: 1-line block ×5, first 2 shown]
	v_mul_f64 v[166:167], v[138:139], s[38:39]
	v_add_f64 v[171:172], v[209:210], v[171:172]
	v_mul_f64 v[209:210], v[138:139], s[22:23]
	v_mul_f64 v[138:139], v[138:139], s[36:37]
	v_add_f64 v[164:165], v[164:165], v[206:207]
	scratch_load_b32 v206, off, off offset:12 ; 4-byte Folded Reload
	v_mov_b32_e32 v207, v143
	v_add_f64 v[126:127], v[126:127], v[40:41]
	v_add_f64 v[66:67], v[213:214], v[66:67]
	v_fma_f64 v[175:176], v[187:188], s[34:35], v[173:174]
	v_fma_f64 v[173:174], v[187:188], s[34:35], -v[173:174]
	v_add_f64 v[24:25], v[70:71], v[24:25]
	v_fma_f64 v[154:155], v[187:188], s[8:9], v[185:186]
	v_fma_f64 v[156:157], v[187:188], s[28:29], v[204:205]
	v_add_f64 v[26:27], v[189:190], v[26:27]
	v_add_f64 v[70:71], v[148:149], v[162:163]
	v_fma_f64 v[162:163], v[187:188], s[8:9], -v[185:186]
	v_add_f64 v[14:15], v[152:153], v[14:15]
	v_add_f64 v[12:13], v[150:151], v[12:13]
	;; [unrolled: 1-line block ×6, first 2 shown]
	scratch_load_b32 v194, off, off offset:16 ; 4-byte Folded Reload
	v_fma_f64 v[150:151], v[187:188], s[16:17], -v[166:167]
	v_add_f64 v[42:43], v[42:43], v[171:172]
	v_fma_f64 v[148:149], v[187:188], s[20:21], v[138:139]
	s_clause 0x1
	scratch_load_b32 v195, off, off offset:100
	scratch_load_b32 v202, off, off offset:8
	v_fma_f64 v[16:17], v[187:188], s[24:25], v[209:210]
	v_fma_f64 v[215:216], v[187:188], s[16:17], v[166:167]
	v_fma_f64 v[138:139], v[187:188], s[20:21], -v[138:139]
	v_fma_f64 v[152:153], v[187:188], s[24:25], -v[209:210]
	;; [unrolled: 1-line block ×3, first 2 shown]
	v_mov_b32_e32 v205, v142
	v_add_f64 v[158:159], v[175:176], v[164:165]
	v_add_f64 v[66:67], v[154:155], v[66:67]
                                        ; implicit-def: $vgpr154_vgpr155
	v_add_f64 v[24:25], v[156:157], v[24:25]
	v_add_f64 v[22:23], v[150:151], v[22:23]
	;; [unrolled: 1-line block ×5, first 2 shown]
	s_clause 0x2
	scratch_load_b32 v42, off, off offset:104
	scratch_load_b32 v55, off, off offset:112
	;; [unrolled: 1-line block ×3, first 2 shown]
	v_mov_b32_e32 v222, v73
	v_add_f64 v[16:17], v[16:17], v[70:71]
	v_add_f64 v[26:27], v[215:216], v[26:27]
	;; [unrolled: 1-line block ×5, first 2 shown]
	v_cndmask_b32_e64 v43, 0, 0xa90, s1
	s_waitcnt vmcnt(0)
	s_waitcnt_vscnt null, 0x0
	s_barrier
	buffer_gl0_inv
                                        ; implicit-def: $vgpr152_vgpr153
	v_mov_b32_e32 v221, v72
	v_lshl_add_u32 v140, v194, 3, 0
	v_lshl_add_u32 v141, v195, 3, 0
	v_and_b32_e32 v42, 0xffff, v42
	v_lshlrev_b32_e32 v55, 3, v55
	v_add_f64 v[126:127], v[126:127], v[221:222]
	v_lshlrev_b32_e32 v54, 3, v54
	s_delay_alu instid0(VALU_DEP_4) | instskip(NEXT) | instid1(VALU_DEP_2)
	v_mul_u32_u24_e32 v42, 0xa90, v42
	v_add3_u32 v139, 0, v43, v54
	s_delay_alu instid0(VALU_DEP_2) | instskip(NEXT) | instid1(VALU_DEP_2)
	v_add3_u32 v138, 0, v42, v55
	v_add_nc_u32_e32 v168, 0x800, v139
	s_delay_alu instid0(VALU_DEP_2) | instskip(SKIP_1) | instid1(VALU_DEP_1)
	v_add_nc_u32_e32 v142, 0x800, v138
	v_add_f64 v[126:127], v[126:127], v[60:61]
	v_add_f64 v[126:127], v[126:127], v[62:63]
	s_delay_alu instid0(VALU_DEP_1) | instskip(NEXT) | instid1(VALU_DEP_1)
	v_add_f64 v[126:127], v[126:127], v[90:91]
	v_add_f64 v[126:127], v[126:127], v[92:93]
	s_delay_alu instid0(VALU_DEP_1) | instskip(NEXT) | instid1(VALU_DEP_1)
	v_add_f64 v[126:127], v[126:127], v[94:95]
	v_add_f64 v[126:127], v[126:127], v[96:97]
	s_delay_alu instid0(VALU_DEP_1) | instskip(NEXT) | instid1(VALU_DEP_1)
	v_add_f64 v[126:127], v[126:127], v[98:99]
	v_add_f64 v[126:127], v[126:127], v[104:105]
	s_delay_alu instid0(VALU_DEP_1)
	v_add_f64 v[70:71], v[126:127], v[108:109]
	ds_store_2addr_b64 v139, v[34:35], v[68:69] offset0:52 offset1:78
	ds_store_2addr_b64 v139, v[32:33], v[100:101] offset0:104 offset1:130
	;; [unrolled: 1-line block ×5, first 2 shown]
	ds_store_b64 v139, v[0:1] offset:2496
	ds_store_2addr_b64 v139, v[8:9], v[10:11] offset1:26
	ds_store_2addr_b64 v138, v[70:71], v[158:159] offset1:26
	ds_store_2addr_b64 v138, v[66:67], v[24:25] offset0:52 offset1:78
	ds_store_2addr_b64 v138, v[26:27], v[16:17] offset0:104 offset1:130
	;; [unrolled: 1-line block ×5, first 2 shown]
	ds_store_b64 v138, v[150:151] offset:2496
	s_waitcnt lgkmcnt(0)
	s_barrier
	buffer_gl0_inv
	scratch_load_b32 v0, off, off           ; 4-byte Folded Reload
	s_waitcnt vmcnt(0)
	ds_load_b64 v[158:159], v0
	scratch_load_b32 v0, off, off offset:4  ; 4-byte Folded Reload
	s_waitcnt vmcnt(0)
	ds_load_b64 v[166:167], v0
	ds_load_b64 v[164:165], v201
	;; [unrolled: 1-line block ×5, first 2 shown]
	ds_load_2addr_b64 v[32:35], v206 offset0:82 offset1:134
	ds_load_2addr_b64 v[24:27], v203 offset0:164 offset1:216
	;; [unrolled: 1-line block ×9, first 2 shown]
	s_clause 0x1
	scratch_load_b32 v42, off, off offset:36
	scratch_load_b32 v43, off, off offset:40
	s_waitcnt vmcnt(1)
	v_sub_nc_u32_e32 v42, 0, v42
	s_waitcnt vmcnt(0)
	s_delay_alu instid0(VALU_DEP_1)
	v_add_nc_u32_e32 v143, v43, v42
	scratch_load_b32 v42, off, off offset:28 ; 4-byte Folded Reload
	s_waitcnt vmcnt(0)
	v_sub_nc_u32_e32 v172, 0, v42
	scratch_load_b32 v42, off, off offset:32 ; 4-byte Folded Reload
	s_waitcnt vmcnt(0)
	v_sub_nc_u32_e32 v173, 0, v42
	s_and_saveexec_b32 s1, s0
	s_cbranch_execz .LBB0_15
; %bb.14:
	ds_load_b64 v[150:151], v201 offset:5200
	ds_load_b64 v[152:153], v201 offset:7904
	ds_load_b64 v[148:149], v143
	ds_load_b64 v[154:155], v201 offset:10608
.LBB0_15:
	s_or_b32 exec_lo, exec_lo, s1
	s_clause 0x3
	scratch_load_b64 v[72:73], off, off offset:68
	scratch_load_b64 v[58:59], off, off offset:76
	;; [unrolled: 1-line block ×4, first 2 shown]
	v_add_f64 v[116:117], v[116:117], -v[122:123]
	v_add_f64 v[124:125], v[112:113], -v[124:125]
	;; [unrolled: 1-line block ×6, first 2 shown]
	s_waitcnt vmcnt(0) lgkmcnt(0)
	s_barrier
	buffer_gl0_inv
	v_add_f64 v[60:61], v[60:61], -v[96:97]
	v_add_f64 v[62:63], v[62:63], -v[94:95]
	v_add_f64 v[122:123], v[88:89], v[72:73]
	v_add_f64 v[128:129], v[78:79], v[58:59]
	;; [unrolled: 1-line block ×3, first 2 shown]
	s_delay_alu instid0(VALU_DEP_3) | instskip(NEXT) | instid1(VALU_DEP_3)
	v_mul_f64 v[126:127], v[122:123], s[16:17]
	v_mul_f64 v[54:55], v[128:129], s[24:25]
	;; [unrolled: 1-line block ×3, first 2 shown]
	s_delay_alu instid0(VALU_DEP_3) | instskip(NEXT) | instid1(VALU_DEP_3)
	v_fma_f64 v[42:43], v[124:125], s[14:15], v[126:127]
	v_fma_f64 v[66:67], v[112:113], s[22:23], v[54:55]
	s_delay_alu instid0(VALU_DEP_3) | instskip(SKIP_4) | instid1(VALU_DEP_4)
	v_fma_f64 v[100:101], v[112:113], s[30:31], v[70:71]
	v_fma_f64 v[126:127], v[124:125], s[38:39], v[126:127]
	;; [unrolled: 1-line block ×4, first 2 shown]
	v_add_f64 v[42:43], v[36:37], v[42:43]
	v_add_f64 v[126:127], v[36:37], v[126:127]
	s_delay_alu instid0(VALU_DEP_2) | instskip(SKIP_1) | instid1(VALU_DEP_3)
	v_add_f64 v[42:43], v[66:67], v[42:43]
	v_mul_f64 v[66:67], v[122:123], s[20:21]
	v_add_f64 v[54:55], v[54:55], v[126:127]
	s_delay_alu instid0(VALU_DEP_2) | instskip(SKIP_1) | instid1(VALU_DEP_2)
	v_fma_f64 v[68:69], v[124:125], s[18:19], v[66:67]
	v_fma_f64 v[66:67], v[124:125], s[36:37], v[66:67]
	v_add_f64 v[68:69], v[36:37], v[68:69]
	s_delay_alu instid0(VALU_DEP_2) | instskip(NEXT) | instid1(VALU_DEP_2)
	v_add_f64 v[66:67], v[36:37], v[66:67]
	v_add_f64 v[68:69], v[100:101], v[68:69]
	;; [unrolled: 1-line block ×3, first 2 shown]
	s_delay_alu instid0(VALU_DEP_3) | instskip(NEXT) | instid1(VALU_DEP_2)
	v_add_f64 v[66:67], v[70:71], v[66:67]
	v_mul_f64 v[130:131], v[100:101], s[34:35]
	v_mul_f64 v[126:127], v[100:101], s[8:9]
	s_delay_alu instid0(VALU_DEP_2) | instskip(SKIP_1) | instid1(VALU_DEP_3)
	v_fma_f64 v[132:133], v[114:115], s[30:31], v[130:131]
	v_fma_f64 v[70:71], v[114:115], s[46:47], v[130:131]
	;; [unrolled: 1-line block ×3, first 2 shown]
	s_delay_alu instid0(VALU_DEP_3) | instskip(SKIP_1) | instid1(VALU_DEP_4)
	v_add_f64 v[42:43], v[132:133], v[42:43]
	v_mul_f64 v[132:133], v[100:101], s[24:25]
	v_add_f64 v[54:55], v[70:71], v[54:55]
	s_delay_alu instid0(VALU_DEP_2) | instskip(SKIP_1) | instid1(VALU_DEP_2)
	v_fma_f64 v[134:135], v[114:115], s[40:41], v[132:133]
	v_fma_f64 v[70:71], v[114:115], s[22:23], v[132:133]
	v_add_f64 v[68:69], v[134:135], v[68:69]
	v_add_f64 v[134:135], v[84:85], v[76:77]
	s_delay_alu instid0(VALU_DEP_3) | instskip(NEXT) | instid1(VALU_DEP_2)
	v_add_f64 v[66:67], v[70:71], v[66:67]
	v_mul_f64 v[136:137], v[134:135], s[28:29]
	s_delay_alu instid0(VALU_DEP_1) | instskip(SKIP_1) | instid1(VALU_DEP_2)
	v_fma_f64 v[146:147], v[118:119], s[44:45], v[136:137]
	v_fma_f64 v[70:71], v[118:119], s[26:27], v[136:137]
	v_add_f64 v[42:43], v[146:147], v[42:43]
	v_mul_f64 v[146:147], v[134:135], s[8:9]
	s_delay_alu instid0(VALU_DEP_3) | instskip(NEXT) | instid1(VALU_DEP_2)
	v_add_f64 v[54:55], v[70:71], v[54:55]
	v_fma_f64 v[174:175], v[118:119], s[42:43], v[146:147]
	v_fma_f64 v[70:71], v[118:119], s[6:7], v[146:147]
	s_delay_alu instid0(VALU_DEP_2) | instskip(SKIP_1) | instid1(VALU_DEP_3)
	v_add_f64 v[68:69], v[174:175], v[68:69]
	v_add_f64 v[174:175], v[86:87], v[80:81]
	;; [unrolled: 1-line block ×3, first 2 shown]
	s_delay_alu instid0(VALU_DEP_2) | instskip(NEXT) | instid1(VALU_DEP_1)
	v_mul_f64 v[176:177], v[174:175], s[20:21]
	v_fma_f64 v[178:179], v[116:117], s[36:37], v[176:177]
	v_fma_f64 v[70:71], v[116:117], s[18:19], v[176:177]
	s_delay_alu instid0(VALU_DEP_2) | instskip(SKIP_1) | instid1(VALU_DEP_3)
	v_add_f64 v[42:43], v[178:179], v[42:43]
	v_mul_f64 v[178:179], v[174:175], s[16:17]
	v_add_f64 v[54:55], v[70:71], v[54:55]
	s_delay_alu instid0(VALU_DEP_2) | instskip(SKIP_1) | instid1(VALU_DEP_2)
	v_fma_f64 v[180:181], v[116:117], s[14:15], v[178:179]
	v_fma_f64 v[70:71], v[116:117], s[38:39], v[178:179]
	v_add_f64 v[68:69], v[180:181], v[68:69]
	v_add_f64 v[180:181], v[106:107], v[169:170]
	s_delay_alu instid0(VALU_DEP_3) | instskip(NEXT) | instid1(VALU_DEP_2)
	v_add_f64 v[66:67], v[70:71], v[66:67]
	v_mul_f64 v[182:183], v[180:181], s[8:9]
	s_delay_alu instid0(VALU_DEP_1) | instskip(SKIP_1) | instid1(VALU_DEP_2)
	v_fma_f64 v[184:185], v[120:121], s[42:43], v[182:183]
	v_fma_f64 v[70:71], v[120:121], s[6:7], v[182:183]
	v_add_f64 v[42:43], v[184:185], v[42:43]
	v_mul_f64 v[184:185], v[180:181], s[28:29]
	s_delay_alu instid0(VALU_DEP_3) | instskip(NEXT) | instid1(VALU_DEP_2)
	v_add_f64 v[54:55], v[70:71], v[54:55]
	v_fma_f64 v[186:187], v[120:121], s[26:27], v[184:185]
	v_fma_f64 v[70:71], v[120:121], s[44:45], v[184:185]
	s_delay_alu instid0(VALU_DEP_2) | instskip(NEXT) | instid1(VALU_DEP_2)
	v_add_f64 v[68:69], v[186:187], v[68:69]
	v_add_f64 v[66:67], v[70:71], v[66:67]
	v_mul_f64 v[186:187], v[122:123], s[28:29]
	v_mul_f64 v[70:71], v[128:129], s[20:21]
	ds_store_2addr_b64 v168, v[68:69], v[42:43] offset0:4 offset1:30
	v_mul_f64 v[42:43], v[122:123], s[8:9]
	v_mul_f64 v[68:69], v[122:123], s[24:25]
	;; [unrolled: 1-line block ×3, first 2 shown]
	ds_store_2addr_b64 v139, v[54:55], v[66:67] offset0:52 offset1:78
	v_mul_f64 v[54:55], v[128:129], s[28:29]
	v_fma_f64 v[192:193], v[124:125], s[44:45], v[186:187]
	v_fma_f64 v[186:187], v[124:125], s[26:27], v[186:187]
	;; [unrolled: 1-line block ×9, first 2 shown]
	v_add_f64 v[186:187], v[36:37], v[186:187]
	v_add_f64 v[124:125], v[36:37], v[188:189]
	;; [unrolled: 1-line block ×8, first 2 shown]
	v_fma_f64 v[122:123], v[112:113], s[18:19], v[70:71]
	v_add_f64 v[66:67], v[66:67], v[188:189]
	s_delay_alu instid0(VALU_DEP_2) | instskip(NEXT) | instid1(VALU_DEP_2)
	v_add_f64 v[122:123], v[122:123], v[190:191]
	v_add_f64 v[66:67], v[130:131], v[66:67]
	v_mul_f64 v[130:131], v[100:101], s[16:17]
	s_delay_alu instid0(VALU_DEP_1) | instskip(NEXT) | instid1(VALU_DEP_1)
	v_fma_f64 v[132:133], v[114:115], s[38:39], v[130:131]
	v_add_f64 v[122:123], v[132:133], v[122:123]
	v_mul_f64 v[132:133], v[134:135], s[20:21]
	s_delay_alu instid0(VALU_DEP_1) | instskip(NEXT) | instid1(VALU_DEP_1)
	v_fma_f64 v[136:137], v[118:119], s[36:37], v[132:133]
	;; [unrolled: 4-line block ×7, first 2 shown]
	v_add_f64 v[122:123], v[184:185], v[122:123]
	ds_store_2addr_b64 v139, v[66:67], v[122:123] offset0:104 offset1:130
	v_mul_f64 v[66:67], v[128:129], s[8:9]
	s_delay_alu instid0(VALU_DEP_1) | instskip(SKIP_1) | instid1(VALU_DEP_2)
	v_fma_f64 v[122:123], v[112:113], s[6:7], v[66:67]
	v_fma_f64 v[66:67], v[112:113], s[42:43], v[66:67]
	v_add_f64 v[122:123], v[122:123], v[192:193]
	s_delay_alu instid0(VALU_DEP_2) | instskip(SKIP_1) | instid1(VALU_DEP_1)
	v_add_f64 v[36:37], v[66:67], v[36:37]
	v_mul_f64 v[66:67], v[100:101], s[28:29]
	v_fma_f64 v[184:185], v[114:115], s[44:45], v[66:67]
	v_fma_f64 v[66:67], v[114:115], s[26:27], v[66:67]
	s_delay_alu instid0(VALU_DEP_2) | instskip(NEXT) | instid1(VALU_DEP_2)
	v_add_f64 v[122:123], v[184:185], v[122:123]
	v_add_f64 v[36:37], v[66:67], v[36:37]
	v_mul_f64 v[66:67], v[134:135], s[16:17]
	s_delay_alu instid0(VALU_DEP_1) | instskip(SKIP_1) | instid1(VALU_DEP_2)
	v_fma_f64 v[184:185], v[118:119], s[14:15], v[66:67]
	v_fma_f64 v[66:67], v[118:119], s[38:39], v[66:67]
	v_add_f64 v[122:123], v[184:185], v[122:123]
	s_delay_alu instid0(VALU_DEP_2) | instskip(SKIP_1) | instid1(VALU_DEP_1)
	v_add_f64 v[36:37], v[66:67], v[36:37]
	v_mul_f64 v[66:67], v[174:175], s[24:25]
	v_fma_f64 v[184:185], v[116:117], s[40:41], v[66:67]
	v_fma_f64 v[66:67], v[116:117], s[22:23], v[66:67]
	s_delay_alu instid0(VALU_DEP_2) | instskip(NEXT) | instid1(VALU_DEP_2)
	v_add_f64 v[122:123], v[184:185], v[122:123]
	v_add_f64 v[36:37], v[66:67], v[36:37]
	v_mul_f64 v[66:67], v[180:181], s[20:21]
	s_delay_alu instid0(VALU_DEP_1) | instskip(SKIP_1) | instid1(VALU_DEP_2)
	v_fma_f64 v[184:185], v[120:121], s[18:19], v[66:67]
	v_fma_f64 v[66:67], v[120:121], s[36:37], v[66:67]
	v_add_f64 v[122:123], v[184:185], v[122:123]
	s_delay_alu instid0(VALU_DEP_2) | instskip(SKIP_4) | instid1(VALU_DEP_2)
	v_add_f64 v[36:37], v[66:67], v[36:37]
	v_fma_f64 v[66:67], v[114:115], s[42:43], v[126:127]
	ds_store_2addr_b64 v139, v[122:123], v[36:37] offset0:156 offset1:182
	v_fma_f64 v[36:37], v[112:113], s[44:45], v[54:55]
	v_fma_f64 v[54:55], v[112:113], s[36:37], v[70:71]
	v_add_f64 v[36:37], v[36:37], v[68:69]
	s_delay_alu instid0(VALU_DEP_2) | instskip(SKIP_1) | instid1(VALU_DEP_3)
	v_add_f64 v[54:55], v[54:55], v[186:187]
	v_mul_f64 v[68:69], v[100:101], s[20:21]
	v_add_f64 v[36:37], v[66:67], v[36:37]
	v_fma_f64 v[66:67], v[114:115], s[14:15], v[130:131]
	s_delay_alu instid0(VALU_DEP_3) | instskip(SKIP_1) | instid1(VALU_DEP_3)
	v_fma_f64 v[70:71], v[114:115], s[36:37], v[68:69]
	v_fma_f64 v[68:69], v[114:115], s[18:19], v[68:69]
	v_add_f64 v[54:55], v[66:67], v[54:55]
	v_fma_f64 v[66:67], v[118:119], s[18:19], v[132:133]
	s_delay_alu instid0(VALU_DEP_1) | instskip(SKIP_1) | instid1(VALU_DEP_1)
	v_add_f64 v[36:37], v[66:67], v[36:37]
	v_fma_f64 v[66:67], v[118:119], s[46:47], v[136:137]
	v_add_f64 v[54:55], v[66:67], v[54:55]
	v_fma_f64 v[66:67], v[116:117], s[46:47], v[146:147]
	s_delay_alu instid0(VALU_DEP_1) | instskip(SKIP_1) | instid1(VALU_DEP_1)
	v_add_f64 v[36:37], v[66:67], v[36:37]
	;; [unrolled: 5-line block ×3, first 2 shown]
	v_fma_f64 v[66:67], v[120:121], s[22:23], v[182:183]
	v_add_f64 v[54:55], v[66:67], v[54:55]
	ds_store_2addr_b64 v139, v[54:55], v[36:37] offset0:208 offset1:234
	v_add_f64 v[36:37], v[88:89], v[78:79]
	v_mul_f64 v[54:55], v[128:129], s[16:17]
	v_add_f64 v[78:79], v[38:39], v[102:103]
	v_add_f64 v[38:39], v[64:65], v[38:39]
	s_delay_alu instid0(VALU_DEP_4) | instskip(NEXT) | instid1(VALU_DEP_4)
	v_add_f64 v[36:37], v[36:37], v[82:83]
	v_fma_f64 v[66:67], v[112:113], s[38:39], v[54:55]
	s_delay_alu instid0(VALU_DEP_4)
	v_mul_f64 v[82:83], v[78:79], s[16:17]
	v_mul_f64 v[88:89], v[78:79], s[28:29]
	v_fma_f64 v[54:55], v[112:113], s[14:15], v[54:55]
	v_add_f64 v[36:37], v[36:37], v[84:85]
	v_add_f64 v[66:67], v[66:67], v[124:125]
	v_mul_f64 v[84:85], v[78:79], s[20:21]
	s_delay_alu instid0(VALU_DEP_4) | instskip(NEXT) | instid1(VALU_DEP_4)
	v_add_f64 v[42:43], v[54:55], v[42:43]
	v_add_f64 v[36:37], v[36:37], v[86:87]
	s_delay_alu instid0(VALU_DEP_4) | instskip(SKIP_4) | instid1(VALU_DEP_1)
	v_add_f64 v[66:67], v[70:71], v[66:67]
	v_mul_f64 v[70:71], v[134:135], s[24:25]
	v_mul_f64 v[86:87], v[78:79], s[24:25]
	v_add_f64 v[42:43], v[68:69], v[42:43]
	v_add_f64 v[36:37], v[36:37], v[106:107]
	;; [unrolled: 1-line block ×3, first 2 shown]
	s_delay_alu instid0(VALU_DEP_1) | instskip(SKIP_2) | instid1(VALU_DEP_3)
	v_add_f64 v[36:37], v[36:37], v[80:81]
	v_mul_f64 v[80:81], v[78:79], s[8:9]
	v_mul_f64 v[78:79], v[78:79], s[34:35]
	v_add_f64 v[36:37], v[36:37], v[76:77]
	v_fma_f64 v[76:77], v[118:119], s[40:41], v[70:71]
	v_fma_f64 v[70:71], v[118:119], s[22:23], v[70:71]
	s_delay_alu instid0(VALU_DEP_3) | instskip(SKIP_1) | instid1(VALU_DEP_4)
	v_add_f64 v[36:37], v[36:37], v[74:75]
	v_mul_f64 v[74:75], v[174:175], s[28:29]
	v_add_f64 v[66:67], v[76:77], v[66:67]
	s_delay_alu instid0(VALU_DEP_4) | instskip(NEXT) | instid1(VALU_DEP_4)
	v_add_f64 v[42:43], v[70:71], v[42:43]
	v_add_f64 v[36:37], v[36:37], v[58:59]
	s_delay_alu instid0(VALU_DEP_4) | instskip(SKIP_2) | instid1(VALU_DEP_4)
	v_fma_f64 v[76:77], v[116:117], s[44:45], v[74:75]
	v_mul_f64 v[58:59], v[180:181], s[34:35]
	v_fma_f64 v[74:75], v[116:117], s[26:27], v[74:75]
	v_add_f64 v[36:37], v[36:37], v[72:73]
	s_delay_alu instid0(VALU_DEP_4) | instskip(NEXT) | instid1(VALU_DEP_4)
	v_add_f64 v[66:67], v[76:77], v[66:67]
	v_fma_f64 v[76:77], v[120:121], s[46:47], v[58:59]
	v_add_f64 v[72:73], v[221:222], -v[98:99]
	v_fma_f64 v[58:59], v[120:121], s[30:31], v[58:59]
	v_add_f64 v[42:43], v[74:75], v[42:43]
	s_delay_alu instid0(VALU_DEP_4) | instskip(SKIP_1) | instid1(VALU_DEP_3)
	v_add_f64 v[66:67], v[76:77], v[66:67]
	v_add_f64 v[76:77], v[90:91], -v[92:93]
	v_add_f64 v[42:43], v[58:59], v[42:43]
	ds_store_2addr_b64 v139, v[36:37], v[66:67] offset1:26
	v_add_f64 v[36:37], v[110:111], -v[108:109]
	v_add_f64 v[66:67], v[40:41], -v[104:105]
	s_delay_alu instid0(VALU_DEP_2)
	v_fma_f64 v[90:91], v[36:37], s[42:43], v[80:81]
	v_fma_f64 v[80:81], v[36:37], s[6:7], v[80:81]
	;; [unrolled: 1-line block ×12, first 2 shown]
	scratch_load_b64 v[78:79], off, off offset:48 ; 8-byte Folded Reload
	v_add_f64 v[80:81], v[64:65], v[80:81]
	v_add_f64 v[82:83], v[64:65], v[82:83]
	;; [unrolled: 1-line block ×6, first 2 shown]
	s_waitcnt vmcnt(0)
	v_add_f64 v[38:39], v[38:39], v[78:79]
	v_add_f64 v[78:79], v[78:79], v[52:53]
	s_delay_alu instid0(VALU_DEP_2) | instskip(NEXT) | instid1(VALU_DEP_2)
	v_add_f64 v[38:39], v[38:39], v[223:224]
	v_mul_f64 v[104:105], v[78:79], s[16:17]
	v_mul_f64 v[106:107], v[78:79], s[24:25]
	;; [unrolled: 1-line block ×6, first 2 shown]
	v_add_f64 v[38:39], v[38:39], v[225:226]
	v_fma_f64 v[114:115], v[66:67], s[38:39], v[104:105]
	v_fma_f64 v[104:105], v[66:67], s[14:15], v[104:105]
	;; [unrolled: 1-line block ×12, first 2 shown]
	v_add_f64 v[78:79], v[64:65], v[90:91]
	v_add_f64 v[90:91], v[64:65], v[92:93]
	;; [unrolled: 1-line block ×19, first 2 shown]
	v_mul_f64 v[40:41], v[46:47], s[28:29]
	s_delay_alu instid0(VALU_DEP_3) | instskip(SKIP_1) | instid1(VALU_DEP_2)
	v_add_f64 v[38:39], v[38:39], v[50:51]
	v_add_f64 v[50:51], v[223:224], v[56:57]
	;; [unrolled: 1-line block ×3, first 2 shown]
	s_delay_alu instid0(VALU_DEP_2)
	v_mul_f64 v[64:65], v[50:51], s[20:21]
	v_add_f64 v[44:45], v[225:226], v[227:228]
	v_mul_f64 v[100:101], v[50:51], s[34:35]
	v_mul_f64 v[126:127], v[50:51], s[24:25]
	;; [unrolled: 1-line block ×5, first 2 shown]
	v_add_f64 v[38:39], v[38:39], v[227:228]
	v_fma_f64 v[132:133], v[72:73], s[36:37], v[64:65]
	v_fma_f64 v[64:65], v[72:73], s[18:19], v[64:65]
	v_mul_f64 v[88:89], v[44:45], s[24:25]
	v_fma_f64 v[134:135], v[72:73], s[46:47], v[100:101]
	v_fma_f64 v[100:101], v[72:73], s[30:31], v[100:101]
	;; [unrolled: 1-line block ×10, first 2 shown]
	v_add_f64 v[72:73], v[116:117], v[90:91]
	v_add_f64 v[90:91], v[120:121], v[94:95]
	;; [unrolled: 1-line block ×3, first 2 shown]
	v_mul_f64 v[96:97], v[44:45], s[28:29]
	v_mul_f64 v[98:99], v[44:45], s[8:9]
	;; [unrolled: 1-line block ×5, first 2 shown]
	v_add_f64 v[38:39], v[38:39], v[56:57]
	v_mul_f64 v[56:57], v[48:49], s[34:35]
	v_add_f64 v[64:65], v[64:65], v[80:81]
	v_fma_f64 v[108:109], v[60:61], s[40:41], v[88:89]
	v_fma_f64 v[88:89], v[60:61], s[22:23], v[88:89]
	v_add_f64 v[68:69], v[100:101], v[78:79]
	v_mul_f64 v[80:81], v[46:47], s[20:21]
	v_fma_f64 v[100:101], v[62:63], s[44:45], v[40:41]
	v_fma_f64 v[40:41], v[62:63], s[26:27], v[40:41]
	v_add_f64 v[54:55], v[132:133], v[54:55]
	v_add_f64 v[36:37], v[50:51], v[36:37]
	;; [unrolled: 1-line block ×5, first 2 shown]
	v_fma_f64 v[110:111], v[60:61], s[26:27], v[96:97]
	v_fma_f64 v[96:97], v[60:61], s[44:45], v[96:97]
	;; [unrolled: 1-line block ×10, first 2 shown]
	v_add_f64 v[60:61], v[134:135], v[72:73]
	v_add_f64 v[72:73], v[136:137], v[82:83]
	v_add_f64 v[82:83], v[128:129], v[86:87]
	v_add_f64 v[86:87], v[168:169], v[92:93]
	v_add_f64 v[66:67], v[126:127], v[84:85]
	v_mul_f64 v[84:85], v[46:47], s[16:17]
	v_mul_f64 v[92:93], v[46:47], s[34:35]
	;; [unrolled: 1-line block ×4, first 2 shown]
	v_add_f64 v[38:39], v[38:39], v[52:53]
	v_add_f64 v[64:65], v[88:89], v[64:65]
	v_mul_f64 v[88:89], v[48:49], s[16:17]
	v_fma_f64 v[120:121], v[62:63], s[18:19], v[80:81]
	v_fma_f64 v[80:81], v[62:63], s[36:37], v[80:81]
	v_add_f64 v[54:55], v[108:109], v[54:55]
	v_add_f64 v[70:71], v[114:115], v[78:79]
	;; [unrolled: 1-line block ×7, first 2 shown]
	v_fma_f64 v[122:123], v[62:63], s[38:39], v[84:85]
	v_fma_f64 v[84:85], v[62:63], s[14:15], v[84:85]
	;; [unrolled: 1-line block ×8, first 2 shown]
	v_add_f64 v[62:63], v[96:97], v[68:69]
	v_fma_f64 v[96:97], v[76:77], s[46:47], v[56:57]
	v_fma_f64 v[56:57], v[76:77], s[30:31], v[56:57]
	v_add_f64 v[40:41], v[40:41], v[64:65]
	v_add_f64 v[68:69], v[112:113], v[72:73]
	v_mul_f64 v[66:67], v[48:49], s[8:9]
	v_mul_f64 v[86:87], v[48:49], s[28:29]
	v_add_f64 v[72:73], v[104:105], v[82:83]
	v_add_f64 v[82:83], v[118:119], v[90:91]
	v_mul_f64 v[90:91], v[48:49], s[24:25]
	v_mul_f64 v[48:49], v[48:49], s[20:21]
	v_add_f64 v[54:55], v[100:101], v[54:55]
	v_fma_f64 v[106:107], v[76:77], s[14:15], v[88:89]
	v_fma_f64 v[88:89], v[76:77], s[38:39], v[88:89]
	v_add_f64 v[38:39], v[38:39], v[102:103]
	v_add_f64 v[60:61], v[120:121], v[60:61]
	;; [unrolled: 1-line block ×9, first 2 shown]
	s_clause 0x1
	scratch_load_b32 v40, off, off offset:20
	scratch_load_b32 v41, off, off offset:24
	v_fma_f64 v[98:99], v[76:77], s[6:7], v[66:67]
	v_fma_f64 v[104:105], v[76:77], s[44:45], v[86:87]
	v_add_f64 v[68:69], v[122:123], v[68:69]
	v_fma_f64 v[108:109], v[76:77], s[40:41], v[90:91]
	v_fma_f64 v[110:111], v[76:77], s[18:19], v[48:49]
	;; [unrolled: 1-line block ×3, first 2 shown]
	v_add_f64 v[74:75], v[128:129], v[82:83]
	v_fma_f64 v[66:67], v[76:77], s[42:43], v[66:67]
	v_fma_f64 v[90:91], v[76:77], s[22:23], v[90:91]
	v_add_f64 v[72:73], v[92:93], v[72:73]
	v_fma_f64 v[86:87], v[76:77], s[26:27], v[86:87]
	v_add_f64 v[50:51], v[96:97], v[54:55]
	v_add_f64 v[54:55], v[98:99], v[60:61]
	;; [unrolled: 1-line block ×11, first 2 shown]
	ds_store_b64 v139, v[42:43] offset:2496
                                        ; implicit-def: $vgpr174_vgpr175
	ds_store_2addr_b64 v138, v[38:39], v[50:51] offset1:26
	ds_store_2addr_b64 v138, v[54:55], v[58:59] offset0:52 offset1:78
	ds_store_2addr_b64 v138, v[60:61], v[52:53] offset0:104 offset1:130
	;; [unrolled: 1-line block ×5, first 2 shown]
	ds_store_b64 v138, v[170:171] offset:2496
	s_waitcnt vmcnt(0) lgkmcnt(0)
	s_barrier
	buffer_gl0_inv
	v_add_nc_u32_e32 v40, v40, v172
	v_add_nc_u32_e32 v41, v41, v173
	ds_load_2addr_b64 v[68:71], v206 offset0:82 offset1:134
	ds_load_2addr_b64 v[56:59], v203 offset0:164 offset1:216
	;; [unrolled: 1-line block ×3, first 2 shown]
	ds_load_b64 v[180:181], v40
	ds_load_b64 v[188:189], v41
	;; [unrolled: 1-line block ×6, first 2 shown]
	ds_load_2addr_b64 v[48:51], v206 offset0:186 offset1:238
	ds_load_2addr_b64 v[36:39], v203 offset0:34 offset1:86
	;; [unrolled: 1-line block ×6, first 2 shown]
                                        ; implicit-def: $vgpr172_vgpr173
	s_and_saveexec_b32 s1, s0
	s_cbranch_execz .LBB0_17
; %bb.16:
	ds_load_b64 v[170:171], v201 offset:5200
	ds_load_b64 v[172:173], v201 offset:7904
	ds_load_b64 v[168:169], v143
	ds_load_b64 v[174:175], v201 offset:10608
	scratch_load_b32 v72, off, off offset:528 ; 4-byte Folded Reload
	s_waitcnt vmcnt(0)
	scratch_store_b32 off, v72, off offset:128 ; 4-byte Folded Spill
.LBB0_17:
	s_or_b32 exec_lo, exec_lo, s1
	s_and_saveexec_b32 s0, vcc_lo
	s_cbranch_execz .LBB0_20
; %bb.18:
	s_clause 0x1
	scratch_load_b32 v72, off, off offset:524
	scratch_load_b32 v79, off, off offset:520
	v_mul_i32_i24_e32 v176, 3, v195
	v_mul_u32_u24_e32 v78, 3, v208
	v_mov_b32_e32 v177, 0
	v_mul_hi_u32 v191, 0x60f25deb, v208
	v_mul_lo_u32 v190, s2, v197
	v_mad_u64_u32 v[146:147], null, s2, v196, 0
	v_lshlrev_b32_e32 v80, 4, v78
	v_lshlrev_b64 v[76:77], 4, v[176:177]
	v_add_nc_u32_e32 v192, 52, v208
	v_add_nc_u32_e32 v193, 0x68, v208
	v_lshrrev_b32_e32 v191, 7, v191
	v_add_co_u32 v84, s0, s4, v80
	s_delay_alu instid0(VALU_DEP_1) | instskip(SKIP_1) | instid1(VALU_DEP_3)
	v_add_co_ci_u32_e64 v85, null, s5, 0, s0
	v_add_nc_u32_e32 v197, 0x104, v208
	v_add_co_u32 v82, vcc_lo, 0x1000, v84
	s_delay_alu instid0(VALU_DEP_3)
	v_add_co_ci_u32_e32 v83, vcc_lo, 0, v85, vcc_lo
	v_mul_hi_u32 v198, 0x60f25deb, v192
	v_mul_hi_u32 v199, 0x60f25deb, v193
	v_mul_u32_u24_e32 v191, 0x152, v191
	global_load_b128 v[140:143], v[82:83], off offset:1280
	v_lshlrev_b64 v[144:145], 4, v[144:145]
	v_sub_nc_u32_e32 v209, v208, v191
	v_lshrrev_b32_e32 v198, 7, v198
	v_lshrrev_b32_e32 v199, 7, v199
	s_delay_alu instid0(VALU_DEP_3) | instskip(NEXT) | instid1(VALU_DEP_2)
	v_add_nc_u32_e32 v235, 0x2a4, v209
	v_mul_u32_u24_e32 v191, 0x152, v199
	s_delay_alu instid0(VALU_DEP_1) | instskip(NEXT) | instid1(VALU_DEP_1)
	v_sub_nc_u32_e32 v210, v193, v191
	v_mad_u32_u24 v238, 0x548, v199, v210
	s_delay_alu instid0(VALU_DEP_1) | instskip(NEXT) | instid1(VALU_DEP_1)
	v_add_nc_u32_e32 v246, 0x3f6, v238
	v_mad_u64_u32 v[219:220], null, s12, v246, 0
	s_waitcnt vmcnt(2)
	v_mul_i32_i24_e32 v176, 3, v72
	s_delay_alu instid0(VALU_DEP_1) | instskip(SKIP_2) | instid1(VALU_DEP_2)
	v_lshlrev_b64 v[72:73], 4, v[176:177]
	v_mul_i32_i24_e32 v176, 3, v194
	v_add_nc_u32_e32 v194, 0x9c, v208
	v_lshlrev_b64 v[74:75], 4, v[176:177]
	s_waitcnt vmcnt(1)
	v_mul_i32_i24_e32 v176, 3, v79
	s_delay_alu instid0(VALU_DEP_3) | instskip(NEXT) | instid1(VALU_DEP_2)
	v_mul_hi_u32 v200, 0x60f25deb, v194
	v_lshlrev_b64 v[78:79], 4, v[176:177]
	v_mul_i32_i24_e32 v176, 3, v255
	s_delay_alu instid0(VALU_DEP_3) | instskip(NEXT) | instid1(VALU_DEP_2)
	v_lshrrev_b32_e32 v200, 7, v200
	v_lshlrev_b64 v[80:81], 4, v[176:177]
	v_mul_lo_u32 v176, s3, v196
	v_add_nc_u32_e32 v196, 0xd0, v208
	s_delay_alu instid0(VALU_DEP_4) | instskip(NEXT) | instid1(VALU_DEP_4)
	v_mul_u32_u24_e32 v202, 0x152, v200
	v_add_co_u32 v88, vcc_lo, s4, v80
	v_add_co_ci_u32_e32 v89, vcc_lo, s5, v81, vcc_lo
	v_add3_u32 v147, v147, v190, v176
	s_delay_alu instid0(VALU_DEP_3) | instskip(NEXT) | instid1(VALU_DEP_3)
	v_add_co_u32 v80, vcc_lo, 0x1000, v88
	v_add_co_ci_u32_e32 v81, vcc_lo, 0, v89, vcc_lo
	v_mul_hi_u32 v176, 0x60f25deb, v196
	v_mul_hi_u32 v190, 0x60f25deb, v197
	v_sub_nc_u32_e32 v194, v194, v202
	global_load_b128 v[136:139], v[80:81], off offset:1280
	v_add_co_u32 v80, vcc_lo, 0x1500, v84
	v_add_co_ci_u32_e32 v81, vcc_lo, 0, v85, vcc_lo
	v_lshrrev_b32_e32 v176, 7, v176
	v_lshrrev_b32_e32 v201, 7, v190
	v_mul_u32_u24_e32 v190, 0x152, v198
	global_load_b128 v[128:131], v[80:81], off offset:32
	v_add_co_u32 v82, vcc_lo, s4, v72
	v_add_co_ci_u32_e32 v83, vcc_lo, s5, v73, vcc_lo
	v_mul_u32_u24_e32 v203, 0x152, v176
	s_delay_alu instid0(VALU_DEP_3) | instskip(NEXT) | instid1(VALU_DEP_3)
	v_add_co_u32 v72, vcc_lo, 0x1500, v82
	v_add_co_ci_u32_e32 v73, vcc_lo, 0, v83, vcc_lo
	v_add_co_u32 v82, vcc_lo, 0x1000, v82
	v_add_co_ci_u32_e32 v83, vcc_lo, 0, v83, vcc_lo
	;; [unrolled: 2-line block ×4, first 2 shown]
	s_clause 0x2
	global_load_b128 v[124:127], v[82:83], off offset:1280
	global_load_b128 v[120:123], v[72:73], off offset:32
	;; [unrolled: 1-line block ×3, first 2 shown]
	v_add_co_u32 v72, vcc_lo, 0x1500, v90
	v_add_co_ci_u32_e32 v73, vcc_lo, 0, v91, vcc_lo
	v_add_co_u32 v78, vcc_lo, 0x1500, v100
	v_add_co_ci_u32_e32 v79, vcc_lo, 0, v101, vcc_lo
	s_clause 0x2
	global_load_b128 v[116:119], v[72:73], off offset:32
	global_load_b128 v[72:75], v[72:73], off offset:16
	;; [unrolled: 1-line block ×3, first 2 shown]
	v_add_co_u32 v82, vcc_lo, 0x1500, v88
	v_add_co_ci_u32_e32 v83, vcc_lo, 0, v89, vcc_lo
	s_clause 0x2
	global_load_b128 v[92:95], v[82:83], off offset:32
	global_load_b128 v[96:99], v[82:83], off offset:16
	;; [unrolled: 1-line block ×3, first 2 shown]
	v_add_co_u32 v80, vcc_lo, 0x1000, v100
	v_add_co_ci_u32_e32 v81, vcc_lo, 0, v101, vcc_lo
	global_load_b128 v[108:111], v[78:79], off offset:32
	v_sub_nc_u32_e32 v207, v192, v190
	v_mad_u64_u32 v[192:193], null, s12, v235, 0
	global_load_b128 v[104:107], v[80:81], off offset:1280
	v_add_co_u32 v80, vcc_lo, 0x1000, v90
	v_add_co_ci_u32_e32 v81, vcc_lo, 0, v91, vcc_lo
	v_add_co_u32 v82, vcc_lo, s4, v76
	v_add_co_ci_u32_e32 v83, vcc_lo, s5, v77, vcc_lo
	global_load_b128 v[100:103], v[80:81], off offset:1280
	v_add_co_u32 v80, vcc_lo, 0x1500, v82
	v_add_co_ci_u32_e32 v81, vcc_lo, 0, v83, vcc_lo
	v_add_co_u32 v82, vcc_lo, 0x1000, v82
	v_add_co_ci_u32_e32 v83, vcc_lo, 0, v83, vcc_lo
	s_clause 0x2
	global_load_b128 v[76:79], v[80:81], off offset:16
	global_load_b128 v[88:91], v[80:81], off offset:32
	;; [unrolled: 1-line block ×3, first 2 shown]
	v_mul_u32_u24_e32 v204, 0x152, v201
	v_sub_nc_u32_e32 v202, v196, v203
	v_lshlrev_b64 v[146:147], 4, v[146:147]
	v_mad_u32_u24 v239, 0x548, v200, v194
	v_mad_u32_u24 v237, 0x548, v198, v207
	s_delay_alu instid0(VALU_DEP_4) | instskip(SKIP_4) | instid1(VALU_DEP_3)
	v_mad_u32_u24 v240, 0x548, v176, v202
	v_mov_b32_e32 v176, v193
	v_sub_nc_u32_e32 v203, v197, v204
	v_add_co_u32 v205, vcc_lo, s10, v146
	v_add_co_ci_u32_e32 v206, vcc_lo, s11, v147, vcc_lo
	v_mad_u32_u24 v252, 0x548, v201, v203
	v_mad_u64_u32 v[202:203], null, s12, v239, 0
	v_add_nc_u32_e32 v233, 0x152, v209
	v_mad_u64_u32 v[146:147], null, s12, v209, 0
	v_add_co_u32 v144, vcc_lo, v205, v144
	s_delay_alu instid0(VALU_DEP_3) | instskip(SKIP_1) | instid1(VALU_DEP_4)
	v_mad_u64_u32 v[190:191], null, s12, v233, 0
	v_add_co_ci_u32_e32 v145, vcc_lo, v206, v145, vcc_lo
	v_mad_u64_u32 v[206:207], null, s13, v209, v[147:148]
	v_add_nc_u32_e32 v242, 0x2a4, v237
	v_mad_u64_u32 v[198:199], null, s12, v237, 0
	v_mov_b32_e32 v147, v191
	v_mad_u64_u32 v[204:205], null, s12, v240, 0
	v_add_nc_u32_e32 v236, 0x3f6, v209
	v_mad_u64_u32 v[200:201], null, s12, v238, 0
	s_delay_alu instid0(VALU_DEP_4)
	v_mad_u64_u32 v[193:194], null, s13, v233, v[147:148]
	v_mov_b32_e32 v147, v206
	v_mad_u64_u32 v[211:212], null, s12, v242, 0
	v_add_nc_u32_e32 v244, 0x152, v238
	v_mad_u64_u32 v[233:234], null, s13, v235, v[176:177]
	v_mov_b32_e32 v176, v199
	v_mad_u64_u32 v[196:197], null, s12, v236, 0
	v_mov_b32_e32 v199, v212
	v_mad_u64_u32 v[215:216], null, s12, v244, 0
	v_add_nc_u32_e32 v248, 0x2a4, v239
	v_dual_mov_b32 v194, v203 :: v_dual_add_nc_u32 v241, 0x152, v237
	v_mov_b32_e32 v191, v197
	v_mov_b32_e32 v197, v205
	v_mad_u64_u32 v[205:206], null, s13, v237, v[176:177]
	v_mov_b32_e32 v203, v216
	v_mad_u64_u32 v[223:224], null, s12, v248, 0
	v_add_nc_u32_e32 v245, 0x2a4, v238
	v_mad_u64_u32 v[234:235], null, s13, v236, v[191:192]
	v_mov_b32_e32 v191, v201
	v_mad_u64_u32 v[235:236], null, s13, v239, v[194:195]
	v_mov_b32_e32 v212, v224
	v_mad_u64_u32 v[217:218], null, s12, v245, 0
	v_add_nc_u32_e32 v254, 0x3f6, v240
	v_mad_u64_u32 v[206:207], null, s13, v238, v[191:192]
	v_mov_b32_e32 v194, v220
	v_mad_u64_u32 v[209:210], null, s12, v241, 0
	v_mov_b32_e32 v207, v218
	v_mad_u64_u32 v[231:232], null, s12, v254, 0
	v_add_nc_u32_e32 v253, 0x2a4, v240
	v_mov_b32_e32 v191, v193
	v_dual_mov_b32 v193, v233 :: v_dual_mov_b32 v176, v210
	v_lshlrev_b64 v[146:147], 4, v[146:147]
	s_delay_alu instid0(VALU_DEP_4) | instskip(SKIP_1) | instid1(VALU_DEP_3)
	v_mad_u64_u32 v[229:230], null, s12, v253, 0
	v_add_nc_u32_e32 v251, 0x152, v240
	v_add_co_u32 v146, vcc_lo, v144, v146
	s_delay_alu instid0(VALU_DEP_2) | instskip(SKIP_2) | instid1(VALU_DEP_2)
	v_mad_u64_u32 v[227:228], null, s12, v251, 0
	v_add_nc_u32_e32 v249, 0x3f6, v239
	v_add_co_ci_u32_e32 v147, vcc_lo, v145, v147, vcc_lo
	v_mad_u64_u32 v[225:226], null, s12, v249, 0
	v_add_nc_u32_e32 v247, 0x152, v239
	s_delay_alu instid0(VALU_DEP_1)
	v_mad_u64_u32 v[221:222], null, s12, v247, 0
	v_add_nc_u32_e32 v243, 0x3f6, v237
	v_mad_u64_u32 v[236:237], null, s13, v240, v[197:198]
	v_mad_u64_u32 v[237:238], null, s13, v242, v[199:200]
	v_mov_b32_e32 v197, v234
	v_mov_b32_e32 v210, v222
	v_mad_u64_u32 v[213:214], null, s12, v243, 0
	v_mad_u64_u32 v[233:234], null, s13, v241, v[176:177]
	s_delay_alu instid0(VALU_DEP_2) | instskip(SKIP_1) | instid1(VALU_DEP_2)
	v_dual_mov_b32 v176, v228 :: v_dual_mov_b32 v201, v214
	v_mov_b32_e32 v214, v226
	v_mad_u64_u32 v[238:239], null, s13, v243, v[201:202]
	v_mad_u64_u32 v[239:240], null, s13, v244, v[203:204]
	;; [unrolled: 1-line block ×5, first 2 shown]
	v_mov_b32_e32 v210, v233
	s_waitcnt vmcnt(17)
	v_mul_f64 v[243:244], v[32:33], v[140:141]
	v_mul_f64 v[32:33], v[32:33], v[142:143]
	v_mad_u64_u32 v[245:246], null, s13, v248, v[212:213]
	v_mad_u64_u32 v[246:247], null, s13, v249, v[214:215]
	v_mov_b32_e32 v194, v232
	v_mad_u64_u32 v[249:250], null, s13, v251, v[176:177]
	v_dual_mov_b32 v176, v230 :: v_dual_mov_b32 v203, v235
	v_dual_mov_b32 v218, v240 :: v_dual_mov_b32 v199, v205
	v_mov_b32_e32 v214, v238
	s_delay_alu instid0(VALU_DEP_3)
	v_mad_u64_u32 v[234:235], null, s13, v253, v[176:177]
	v_dual_mov_b32 v205, v236 :: v_dual_mov_b32 v220, v241
	v_dual_mov_b32 v201, v206 :: v_dual_mov_b32 v212, v237
	v_mad_u64_u32 v[206:207], null, s12, v252, 0
	v_dual_mov_b32 v216, v239 :: v_dual_add_nc_u32 v253, 0x152, v252
	v_mad_u64_u32 v[250:251], null, s13, v254, v[194:195]
	v_add_nc_u32_e32 v194, 0x2a4, v252
	v_dual_mov_b32 v222, v242 :: v_dual_add_nc_u32 v251, 0x3f6, v252
	v_mov_b32_e32 v176, v207
	v_mov_b32_e32 v228, v249
	;; [unrolled: 1-line block ×3, first 2 shown]
	s_delay_alu instid0(VALU_DEP_4)
	v_mad_u64_u32 v[241:242], null, s12, v251, 0
	s_waitcnt lgkmcnt(14)
	v_fma_f64 v[142:143], v[68:69], v[142:143], v[243:244]
	v_fma_f64 v[32:33], v[68:69], v[140:141], -v[32:33]
	v_mad_u64_u32 v[243:244], null, s12, v253, 0
	v_mad_u64_u32 v[140:141], null, s13, v252, v[176:177]
	v_mov_b32_e32 v224, v245
	s_delay_alu instid0(VALU_DEP_3) | instskip(NEXT) | instid1(VALU_DEP_3)
	v_dual_mov_b32 v226, v246 :: v_dual_mov_b32 v141, v244
	v_mov_b32_e32 v207, v140
	s_waitcnt vmcnt(16)
	v_mul_f64 v[247:248], v[70:71], v[138:139]
	v_mul_f64 v[138:139], v[34:35], v[138:139]
	s_waitcnt vmcnt(15) lgkmcnt(12)
	v_mul_f64 v[232:233], v[60:61], v[130:131]
	v_mul_f64 v[130:131], v[28:29], v[130:131]
	s_waitcnt vmcnt(14) lgkmcnt(4)
	v_mul_f64 v[68:69], v[36:37], v[126:127]
	v_mul_f64 v[126:127], v[0:1], v[126:127]
	s_waitcnt vmcnt(12)
	v_mul_f64 v[235:236], v[4:5], v[134:135]
	s_waitcnt lgkmcnt(2)
	v_mul_f64 v[134:135], v[44:45], v[134:135]
	s_waitcnt lgkmcnt(0)
	v_mul_f64 v[237:238], v[40:41], v[122:123]
	v_mul_f64 v[122:123], v[8:9], v[122:123]
	v_fma_f64 v[34:35], v[34:35], v[136:137], v[247:248]
	v_fma_f64 v[70:71], v[70:71], v[136:137], -v[138:139]
	s_waitcnt vmcnt(11)
	v_mul_f64 v[136:137], v[54:55], v[118:119]
	v_mul_f64 v[118:119], v[22:23], v[118:119]
	s_waitcnt vmcnt(9)
	v_mul_f64 v[239:240], v[16:17], v[86:87]
	v_mul_f64 v[138:139], v[18:19], v[74:75]
	;; [unrolled: 1-line block ×3, first 2 shown]
	v_mad_u64_u32 v[247:248], null, s12, v194, 0
	v_fma_f64 v[28:29], v[28:29], v[128:129], v[232:233]
	v_fma_f64 v[60:61], v[60:61], v[128:129], -v[130:131]
	s_waitcnt vmcnt(7)
	v_mul_f64 v[128:129], v[26:27], v[98:99]
	s_waitcnt vmcnt(6)
	v_mul_f64 v[130:131], v[24:25], v[114:115]
	v_mul_f64 v[114:115], v[56:57], v[114:115]
	;; [unrolled: 1-line block ×5, first 2 shown]
	v_mov_b32_e32 v232, v250
	v_mov_b32_e32 v176, v248
	v_fma_f64 v[0:1], v[0:1], v[124:125], v[68:69]
	v_mul_f64 v[68:69], v[64:65], v[86:87]
	v_fma_f64 v[44:45], v[44:45], v[132:133], -v[235:236]
	v_fma_f64 v[4:5], v[4:5], v[132:133], v[134:135]
	s_waitcnt vmcnt(4)
	v_mul_f64 v[132:133], v[48:49], v[106:107]
	v_mul_f64 v[86:87], v[12:13], v[106:107]
	;; [unrolled: 1-line block ×4, first 2 shown]
	v_fma_f64 v[36:37], v[36:37], v[124:125], -v[126:127]
	v_fma_f64 v[8:9], v[8:9], v[120:121], v[237:238]
	v_fma_f64 v[40:41], v[40:41], v[120:121], -v[122:123]
	v_lshlrev_b64 v[121:122], 4, v[192:193]
	v_fma_f64 v[22:23], v[22:23], v[116:117], v[136:137]
	v_fma_f64 v[54:55], v[54:55], v[116:117], -v[118:119]
	s_waitcnt vmcnt(3)
	v_mul_f64 v[116:117], v[50:51], v[102:103]
	v_mul_f64 v[102:103], v[14:15], v[102:103]
	v_mad_u64_u32 v[118:119], null, s13, v253, v[141:142]
	v_lshlrev_b64 v[119:120], 4, v[190:191]
	s_waitcnt vmcnt(2)
	v_mul_f64 v[190:191], v[6:7], v[78:79]
	s_waitcnt vmcnt(1)
	v_mul_f64 v[192:193], v[42:43], v[90:91]
	v_mul_f64 v[78:79], v[46:47], v[78:79]
	v_fma_f64 v[58:59], v[58:59], v[96:97], -v[128:129]
	v_mul_f64 v[90:91], v[10:11], v[90:91]
	s_waitcnt vmcnt(0)
	v_mul_f64 v[127:128], v[38:39], v[82:83]
	v_mul_f64 v[82:83], v[2:3], v[82:83]
	v_fma_f64 v[56:57], v[56:57], v[112:113], -v[130:131]
	v_fma_f64 v[24:25], v[24:25], v[112:113], v[114:115]
	v_fma_f64 v[62:63], v[62:63], v[92:93], -v[244:245]
	v_fma_f64 v[26:27], v[26:27], v[96:97], v[98:99]
	v_fma_f64 v[30:31], v[30:31], v[92:93], v[94:95]
	v_fma_f64 v[64:65], v[64:65], v[84:85], -v[239:240]
	v_fma_f64 v[66:67], v[66:67], v[72:73], -v[138:139]
	v_fma_f64 v[18:19], v[18:19], v[72:73], v[74:75]
	v_add_f64 v[60:61], v[32:33], -v[60:61]
	v_add_f64 v[28:29], v[142:143], -v[28:29]
	v_lshlrev_b64 v[123:124], 4, v[196:197]
	v_add_co_u32 v112, vcc_lo, v144, v119
	v_fma_f64 v[16:17], v[16:17], v[84:85], v[68:69]
	v_add_co_ci_u32_e32 v113, vcc_lo, v145, v120, vcc_lo
	v_fma_f64 v[12:13], v[12:13], v[104:105], v[132:133]
	v_fma_f64 v[48:49], v[48:49], v[104:105], -v[86:87]
	v_fma_f64 v[52:53], v[52:53], v[108:109], -v[106:107]
	v_fma_f64 v[20:21], v[20:21], v[108:109], v[110:111]
	v_add_co_u32 v114, vcc_lo, v144, v121
	v_add_f64 v[40:41], v[36:37], -v[40:41]
	v_add_co_ci_u32_e32 v115, vcc_lo, v145, v122, vcc_lo
	v_add_co_u32 v96, vcc_lo, v144, v123
	v_fma_f64 v[14:15], v[14:15], v[100:101], v[116:117]
	v_fma_f64 v[50:51], v[50:51], v[100:101], -v[102:103]
	v_add_co_ci_u32_e32 v97, vcc_lo, v145, v124, vcc_lo
	v_fma_f64 v[46:47], v[46:47], v[76:77], -v[190:191]
	v_fma_f64 v[10:11], v[10:11], v[88:89], v[192:193]
	v_fma_f64 v[6:7], v[6:7], v[76:77], v[78:79]
	v_add_f64 v[58:59], v[184:185], -v[58:59]
	v_fma_f64 v[42:43], v[42:43], v[88:89], -v[90:91]
	v_fma_f64 v[2:3], v[2:3], v[80:81], v[127:128]
	v_fma_f64 v[38:39], v[38:39], v[80:81], -v[82:83]
	v_add_f64 v[56:57], v[186:187], -v[56:57]
	v_add_f64 v[76:77], v[164:165], -v[24:25]
	;; [unrolled: 1-line block ×11, first 2 shown]
	v_lshlrev_b64 v[125:126], 4, v[198:199]
	v_fma_f64 v[8:9], v[32:33], 2.0, -v[60:61]
	v_add_f64 v[82:83], v[158:159], -v[16:17]
	v_fma_f64 v[16:17], v[142:143], 2.0, -v[28:29]
	v_lshlrev_b64 v[134:135], 4, v[200:201]
	v_lshlrev_b64 v[136:137], 4, v[202:203]
	v_add_co_u32 v110, vcc_lo, v144, v125
	v_add_f64 v[30:31], v[48:49], -v[52:53]
	v_add_f64 v[20:21], v[12:13], -v[20:21]
	v_add_co_ci_u32_e32 v111, vcc_lo, v145, v126, vcc_lo
	v_add_co_u32 v116, vcc_lo, v144, v134
	v_add_co_ci_u32_e32 v117, vcc_lo, v145, v135, vcc_lo
	v_add_f64 v[52:53], v[14:15], -v[22:23]
	v_add_f64 v[44:45], v[50:51], -v[54:55]
	v_add_co_u32 v119, vcc_lo, v144, v136
	v_add_f64 v[121:122], v[178:179], -v[46:47]
	v_fma_f64 v[36:37], v[36:37], 2.0, -v[40:41]
	v_add_f64 v[123:124], v[156:157], -v[6:7]
	v_fma_f64 v[129:130], v[184:185], 2.0, -v[58:59]
	v_lshlrev_b64 v[138:139], 4, v[204:205]
	v_add_f64 v[46:47], v[2:3], -v[10:11]
	v_add_f64 v[54:55], v[38:39], -v[42:43]
	v_fma_f64 v[62:63], v[186:187], 2.0, -v[56:57]
	v_fma_f64 v[66:67], v[164:165], 2.0, -v[76:77]
	;; [unrolled: 1-line block ×10, first 2 shown]
	v_lshlrev_b64 v[68:69], 4, v[209:210]
	v_add_co_ci_u32_e32 v120, vcc_lo, v145, v137, vcc_lo
	v_fma_f64 v[133:134], v[158:159], 2.0, -v[82:83]
	v_lshlrev_b64 v[72:73], 4, v[211:212]
	v_add_co_u32 v137, vcc_lo, v144, v138
	v_add_co_ci_u32_e32 v138, vcc_lo, v145, v139, vcc_lo
	v_fma_f64 v[32:33], v[48:49], 2.0, -v[30:31]
	v_fma_f64 v[34:35], v[12:13], 2.0, -v[20:21]
	v_add_co_u32 v158, vcc_lo, v144, v68
	v_add_co_ci_u32_e32 v159, vcc_lo, v145, v69, vcc_lo
	v_add_co_u32 v160, vcc_lo, v144, v72
	v_fma_f64 v[48:49], v[14:15], 2.0, -v[52:53]
	v_fma_f64 v[42:43], v[50:51], 2.0, -v[44:45]
	;; [unrolled: 1-line block ×3, first 2 shown]
	v_add_co_ci_u32_e32 v161, vcc_lo, v145, v73, vcc_lo
	v_fma_f64 v[164:165], v[178:179], 2.0, -v[121:122]
	v_fma_f64 v[156:157], v[156:157], 2.0, -v[123:124]
	v_add_f64 v[6:7], v[56:57], -v[28:29]
	v_add_f64 v[14:15], v[58:59], -v[26:27]
	v_fma_f64 v[72:73], v[2:3], 2.0, -v[46:47]
	v_fma_f64 v[68:69], v[38:39], 2.0, -v[54:55]
	v_add_f64 v[10:11], v[62:63], -v[8:9]
	v_add_f64 v[8:9], v[66:67], -v[16:17]
	;; [unrolled: 1-line block ×3, first 2 shown]
	v_add_f64 v[4:5], v[76:77], v[60:61]
	v_add_f64 v[18:19], v[129:130], -v[18:19]
	v_add_f64 v[16:17], v[70:71], -v[22:23]
	v_add_f64 v[12:13], v[78:79], v[24:25]
	v_add_f64 v[22:23], v[64:65], -v[20:21]
	v_add_f64 v[20:21], v[82:83], v[30:31]
	;; [unrolled: 2-line block ×4, first 2 shown]
	v_add_f64 v[40:41], v[123:124], v[54:55]
	v_lshlrev_b64 v[74:75], 4, v[213:214]
	v_lshlrev_b64 v[84:85], 4, v[215:216]
	;; [unrolled: 1-line block ×5, first 2 shown]
	v_add_f64 v[26:27], v[131:132], -v[32:33]
	v_add_f64 v[24:25], v[133:134], -v[34:35]
	v_add_co_u32 v162, vcc_lo, v144, v74
	v_add_co_ci_u32_e32 v163, vcc_lo, v145, v75, vcc_lo
	v_add_co_u32 v166, vcc_lo, v144, v84
	v_add_f64 v[32:33], v[141:142], -v[48:49]
	v_add_f64 v[34:35], v[135:136], -v[42:43]
	;; [unrolled: 1-line block ×4, first 2 shown]
	v_add_co_ci_u32_e32 v167, vcc_lo, v145, v85, vcc_lo
	v_add_co_u32 v178, vcc_lo, v144, v86
	v_fma_f64 v[50:51], v[56:57], 2.0, -v[6:7]
	v_add_f64 v[44:45], v[156:157], -v[72:73]
	v_add_f64 v[46:47], v[164:165], -v[68:69]
	v_fma_f64 v[54:55], v[62:63], 2.0, -v[10:11]
	v_fma_f64 v[52:53], v[66:67], 2.0, -v[8:9]
	;; [unrolled: 1-line block ×11, first 2 shown]
	v_add_co_ci_u32_e32 v179, vcc_lo, v145, v87, vcc_lo
	v_fma_f64 v[86:87], v[125:126], 2.0, -v[38:39]
	v_fma_f64 v[82:83], v[80:81], 2.0, -v[2:3]
	;; [unrolled: 1-line block ×3, first 2 shown]
	v_lshlrev_b64 v[98:99], 4, v[223:224]
	v_add_co_u32 v180, vcc_lo, v144, v92
	v_fma_f64 v[70:71], v[131:132], 2.0, -v[26:27]
	v_fma_f64 v[68:69], v[133:134], 2.0, -v[24:25]
	v_add_co_ci_u32_e32 v181, vcc_lo, v145, v93, vcc_lo
	v_lshlrev_b64 v[100:101], 4, v[225:226]
	v_add_co_u32 v182, vcc_lo, v144, v94
	v_add_co_ci_u32_e32 v183, vcc_lo, v145, v95, vcc_lo
	v_fma_f64 v[78:79], v[135:136], 2.0, -v[34:35]
	v_fma_f64 v[76:77], v[141:142], 2.0, -v[32:33]
	;; [unrolled: 1-line block ×3, first 2 shown]
	v_lshlrev_b64 v[102:103], 4, v[227:228]
	v_add_co_u32 v98, vcc_lo, v144, v98
	v_add_co_ci_u32_e32 v99, vcc_lo, v145, v99, vcc_lo
	v_lshlrev_b64 v[106:107], 4, v[229:230]
	v_add_co_u32 v100, vcc_lo, v144, v100
	v_add_co_ci_u32_e32 v101, vcc_lo, v145, v101, vcc_lo
	;; [unrolled: 3-line block ×3, first 2 shown]
	v_fma_f64 v[94:95], v[164:165], 2.0, -v[46:47]
	v_fma_f64 v[92:93], v[156:157], 2.0, -v[44:45]
	v_add_co_u32 v104, vcc_lo, v144, v106
	v_fma_f64 v[90:91], v[121:122], 2.0, -v[42:43]
	v_fma_f64 v[88:89], v[123:124], 2.0, -v[40:41]
	v_add_co_ci_u32_e32 v105, vcc_lo, v145, v107, vcc_lo
	s_clause 0x12
	global_store_b128 v[146:147], v[52:55], off
	global_store_b128 v[112:113], v[48:51], off
	;; [unrolled: 1-line block ×19, first 2 shown]
	v_add_co_u32 v4, vcc_lo, v144, v108
	v_mad_u64_u32 v[6:7], null, s13, v194, v[176:177]
	v_mov_b32_e32 v7, v242
	v_add_co_ci_u32_e32 v5, vcc_lo, v145, v109, vcc_lo
	v_mov_b32_e32 v244, v118
	global_store_b128 v[4:5], v[0:3], off
	v_mad_u64_u32 v[2:3], null, s13, v251, v[7:8]
	v_lshlrev_b64 v[0:1], 4, v[206:207]
	v_mov_b32_e32 v248, v6
	v_lshlrev_b64 v[3:4], 4, v[243:244]
	s_delay_alu instid0(VALU_DEP_3) | instskip(SKIP_4) | instid1(VALU_DEP_4)
	v_add_co_u32 v5, vcc_lo, v144, v0
	v_mov_b32_e32 v242, v2
	v_add_co_ci_u32_e32 v6, vcc_lo, v145, v1, vcc_lo
	v_lshlrev_b64 v[0:1], 4, v[247:248]
	v_add_co_u32 v2, vcc_lo, v144, v3
	v_lshlrev_b64 v[7:8], 4, v[241:242]
	v_add_co_ci_u32_e32 v3, vcc_lo, v145, v4, vcc_lo
	s_delay_alu instid0(VALU_DEP_4) | instskip(SKIP_4) | instid1(VALU_DEP_4)
	v_add_co_u32 v9, vcc_lo, v144, v0
	v_add_nc_u32_e32 v0, 0x138, v208
	v_add_co_ci_u32_e32 v10, vcc_lo, v145, v1, vcc_lo
	v_add_co_u32 v7, vcc_lo, v144, v7
	v_add_co_ci_u32_e32 v8, vcc_lo, v145, v8, vcc_lo
	v_cmp_gt_u32_e32 vcc_lo, 0x152, v0
	s_clause 0x3
	global_store_b128 v[5:6], v[92:95], off
	global_store_b128 v[2:3], v[88:91], off
	;; [unrolled: 1-line block ×4, first 2 shown]
	s_and_b32 exec_lo, exec_lo, vcc_lo
	s_cbranch_execz .LBB0_20
; %bb.19:
	scratch_load_b32 v1, off, off offset:128 ; 4-byte Folded Reload
	v_mad_u64_u32 v[21:22], null, s12, v0, 0
	v_add_nc_u32_e32 v32, 0x3dc, v208
	v_add_nc_u32_e32 v31, 0x28a, v208
	s_delay_alu instid0(VALU_DEP_1) | instskip(SKIP_2) | instid1(VALU_DEP_1)
	v_mad_u64_u32 v[23:24], null, s12, v31, 0
	s_waitcnt vmcnt(0)
	v_mul_i32_i24_e32 v176, 3, v1
	v_lshlrev_b64 v[1:2], 4, v[176:177]
	s_delay_alu instid0(VALU_DEP_1) | instskip(NEXT) | instid1(VALU_DEP_2)
	v_add_co_u32 v3, vcc_lo, s4, v1
	v_add_co_ci_u32_e32 v4, vcc_lo, s5, v2, vcc_lo
	s_delay_alu instid0(VALU_DEP_2) | instskip(NEXT) | instid1(VALU_DEP_2)
	v_add_co_u32 v1, vcc_lo, 0x1000, v3
	v_add_co_ci_u32_e32 v2, vcc_lo, 0, v4, vcc_lo
	v_add_co_u32 v9, vcc_lo, 0x1500, v3
	v_add_co_ci_u32_e32 v10, vcc_lo, 0, v4, vcc_lo
	s_clause 0x2
	global_load_b128 v[1:4], v[1:2], off offset:1280
	global_load_b128 v[5:8], v[9:10], off offset:16
	global_load_b128 v[9:12], v[9:10], off offset:32
	s_waitcnt vmcnt(2)
	v_mul_f64 v[13:14], v[170:171], v[3:4]
	v_mul_f64 v[3:4], v[150:151], v[3:4]
	s_waitcnt vmcnt(1)
	v_mul_f64 v[15:16], v[172:173], v[7:8]
	v_mul_f64 v[7:8], v[152:153], v[7:8]
	;; [unrolled: 3-line block ×3, first 2 shown]
	v_fma_f64 v[13:14], v[150:151], v[1:2], v[13:14]
	v_fma_f64 v[1:2], v[170:171], v[1:2], -v[3:4]
	v_fma_f64 v[3:4], v[152:153], v[5:6], v[15:16]
	v_fma_f64 v[5:6], v[172:173], v[5:6], -v[7:8]
	;; [unrolled: 2-line block ×3, first 2 shown]
	s_delay_alu instid0(VALU_DEP_4) | instskip(NEXT) | instid1(VALU_DEP_4)
	v_add_f64 v[11:12], v[148:149], -v[3:4]
	v_add_f64 v[17:18], v[168:169], -v[5:6]
	s_delay_alu instid0(VALU_DEP_4) | instskip(NEXT) | instid1(VALU_DEP_4)
	v_add_f64 v[3:4], v[13:14], -v[7:8]
	v_add_f64 v[5:6], v[1:2], -v[9:10]
	s_delay_alu instid0(VALU_DEP_4) | instskip(NEXT) | instid1(VALU_DEP_4)
	v_fma_f64 v[15:16], v[148:149], 2.0, -v[11:12]
	v_fma_f64 v[19:20], v[168:169], 2.0, -v[17:18]
	s_delay_alu instid0(VALU_DEP_4) | instskip(NEXT) | instid1(VALU_DEP_4)
	v_fma_f64 v[7:8], v[13:14], 2.0, -v[3:4]
	v_fma_f64 v[9:10], v[1:2], 2.0, -v[5:6]
	v_add_f64 v[1:2], v[11:12], v[5:6]
	v_add_f64 v[3:4], v[17:18], -v[3:4]
	s_delay_alu instid0(VALU_DEP_4) | instskip(NEXT) | instid1(VALU_DEP_4)
	v_add_f64 v[5:6], v[15:16], -v[7:8]
	v_add_f64 v[7:8], v[19:20], -v[9:10]
	v_mov_b32_e32 v9, v22
	v_mad_u64_u32 v[25:26], null, s12, v32, 0
	v_add_nc_u32_e32 v33, 0x52e, v208
	s_delay_alu instid0(VALU_DEP_3)
	v_mad_u64_u32 v[29:30], null, s13, v0, v[9:10]
	v_fma_f64 v[9:10], v[11:12], 2.0, -v[1:2]
	v_fma_f64 v[11:12], v[17:18], 2.0, -v[3:4]
	v_mov_b32_e32 v22, v26
	v_mad_u64_u32 v[27:28], null, s12, v33, 0
	v_mov_b32_e32 v0, v24
	s_delay_alu instid0(VALU_DEP_1) | instskip(NEXT) | instid1(VALU_DEP_3)
	v_mad_u64_u32 v[17:18], null, s13, v31, v[0:1]
	v_mov_b32_e32 v24, v28
	v_fma_f64 v[13:14], v[15:16], 2.0, -v[5:6]
	v_fma_f64 v[15:16], v[19:20], 2.0, -v[7:8]
	v_mad_u64_u32 v[18:19], null, s13, v32, v[22:23]
	s_delay_alu instid0(VALU_DEP_4) | instskip(SKIP_2) | instid1(VALU_DEP_4)
	v_mad_u64_u32 v[19:20], null, s13, v33, v[24:25]
	v_mov_b32_e32 v22, v29
	v_mov_b32_e32 v24, v17
	;; [unrolled: 1-line block ×3, first 2 shown]
	s_delay_alu instid0(VALU_DEP_3) | instskip(SKIP_1) | instid1(VALU_DEP_4)
	v_lshlrev_b64 v[17:18], 4, v[21:22]
	v_mov_b32_e32 v28, v19
	v_lshlrev_b64 v[19:20], 4, v[23:24]
	s_delay_alu instid0(VALU_DEP_4) | instskip(NEXT) | instid1(VALU_DEP_4)
	v_lshlrev_b64 v[21:22], 4, v[25:26]
	v_add_co_u32 v17, vcc_lo, v144, v17
	v_add_co_ci_u32_e32 v18, vcc_lo, v145, v18, vcc_lo
	v_lshlrev_b64 v[23:24], 4, v[27:28]
	v_add_co_u32 v19, vcc_lo, v144, v19
	v_add_co_ci_u32_e32 v20, vcc_lo, v145, v20, vcc_lo
	v_add_co_u32 v21, vcc_lo, v144, v21
	v_add_co_ci_u32_e32 v22, vcc_lo, v145, v22, vcc_lo
	;; [unrolled: 2-line block ×3, first 2 shown]
	s_clause 0x3
	global_store_b128 v[17:18], v[13:16], off
	global_store_b128 v[19:20], v[9:12], off
	;; [unrolled: 1-line block ×4, first 2 shown]
.LBB0_20:
	s_endpgm
	.section	.rodata,"a",@progbits
	.p2align	6, 0x0
	.amdhsa_kernel fft_rtc_back_len1352_factors_2_13_13_4_wgs_52_tpt_52_halfLds_dp_op_CI_CI_sbrr_dirReg
		.amdhsa_group_segment_fixed_size 0
		.amdhsa_private_segment_fixed_size 536
		.amdhsa_kernarg_size 104
		.amdhsa_user_sgpr_count 15
		.amdhsa_user_sgpr_dispatch_ptr 0
		.amdhsa_user_sgpr_queue_ptr 0
		.amdhsa_user_sgpr_kernarg_segment_ptr 1
		.amdhsa_user_sgpr_dispatch_id 0
		.amdhsa_user_sgpr_private_segment_size 0
		.amdhsa_wavefront_size32 1
		.amdhsa_uses_dynamic_stack 0
		.amdhsa_enable_private_segment 1
		.amdhsa_system_sgpr_workgroup_id_x 1
		.amdhsa_system_sgpr_workgroup_id_y 0
		.amdhsa_system_sgpr_workgroup_id_z 0
		.amdhsa_system_sgpr_workgroup_info 0
		.amdhsa_system_vgpr_workitem_id 0
		.amdhsa_next_free_vgpr 256
		.amdhsa_next_free_sgpr 48
		.amdhsa_reserve_vcc 1
		.amdhsa_float_round_mode_32 0
		.amdhsa_float_round_mode_16_64 0
		.amdhsa_float_denorm_mode_32 3
		.amdhsa_float_denorm_mode_16_64 3
		.amdhsa_dx10_clamp 1
		.amdhsa_ieee_mode 1
		.amdhsa_fp16_overflow 0
		.amdhsa_workgroup_processor_mode 1
		.amdhsa_memory_ordered 1
		.amdhsa_forward_progress 0
		.amdhsa_shared_vgpr_count 0
		.amdhsa_exception_fp_ieee_invalid_op 0
		.amdhsa_exception_fp_denorm_src 0
		.amdhsa_exception_fp_ieee_div_zero 0
		.amdhsa_exception_fp_ieee_overflow 0
		.amdhsa_exception_fp_ieee_underflow 0
		.amdhsa_exception_fp_ieee_inexact 0
		.amdhsa_exception_int_div_zero 0
	.end_amdhsa_kernel
	.text
.Lfunc_end0:
	.size	fft_rtc_back_len1352_factors_2_13_13_4_wgs_52_tpt_52_halfLds_dp_op_CI_CI_sbrr_dirReg, .Lfunc_end0-fft_rtc_back_len1352_factors_2_13_13_4_wgs_52_tpt_52_halfLds_dp_op_CI_CI_sbrr_dirReg
                                        ; -- End function
	.section	.AMDGPU.csdata,"",@progbits
; Kernel info:
; codeLenInByte = 28108
; NumSgprs: 50
; NumVgprs: 256
; ScratchSize: 536
; MemoryBound: 1
; FloatMode: 240
; IeeeMode: 1
; LDSByteSize: 0 bytes/workgroup (compile time only)
; SGPRBlocks: 6
; VGPRBlocks: 31
; NumSGPRsForWavesPerEU: 50
; NumVGPRsForWavesPerEU: 256
; Occupancy: 5
; WaveLimiterHint : 1
; COMPUTE_PGM_RSRC2:SCRATCH_EN: 1
; COMPUTE_PGM_RSRC2:USER_SGPR: 15
; COMPUTE_PGM_RSRC2:TRAP_HANDLER: 0
; COMPUTE_PGM_RSRC2:TGID_X_EN: 1
; COMPUTE_PGM_RSRC2:TGID_Y_EN: 0
; COMPUTE_PGM_RSRC2:TGID_Z_EN: 0
; COMPUTE_PGM_RSRC2:TIDIG_COMP_CNT: 0
	.text
	.p2alignl 7, 3214868480
	.fill 96, 4, 3214868480
	.type	__hip_cuid_6a79ab309d1d71f3,@object ; @__hip_cuid_6a79ab309d1d71f3
	.section	.bss,"aw",@nobits
	.globl	__hip_cuid_6a79ab309d1d71f3
__hip_cuid_6a79ab309d1d71f3:
	.byte	0                               ; 0x0
	.size	__hip_cuid_6a79ab309d1d71f3, 1

	.ident	"AMD clang version 19.0.0git (https://github.com/RadeonOpenCompute/llvm-project roc-6.4.0 25133 c7fe45cf4b819c5991fe208aaa96edf142730f1d)"
	.section	".note.GNU-stack","",@progbits
	.addrsig
	.addrsig_sym __hip_cuid_6a79ab309d1d71f3
	.amdgpu_metadata
---
amdhsa.kernels:
  - .args:
      - .actual_access:  read_only
        .address_space:  global
        .offset:         0
        .size:           8
        .value_kind:     global_buffer
      - .offset:         8
        .size:           8
        .value_kind:     by_value
      - .actual_access:  read_only
        .address_space:  global
        .offset:         16
        .size:           8
        .value_kind:     global_buffer
      - .actual_access:  read_only
        .address_space:  global
        .offset:         24
        .size:           8
        .value_kind:     global_buffer
      - .actual_access:  read_only
        .address_space:  global
        .offset:         32
        .size:           8
        .value_kind:     global_buffer
      - .offset:         40
        .size:           8
        .value_kind:     by_value
      - .actual_access:  read_only
        .address_space:  global
        .offset:         48
        .size:           8
        .value_kind:     global_buffer
      - .actual_access:  read_only
        .address_space:  global
        .offset:         56
        .size:           8
        .value_kind:     global_buffer
      - .offset:         64
        .size:           4
        .value_kind:     by_value
      - .actual_access:  read_only
        .address_space:  global
        .offset:         72
        .size:           8
        .value_kind:     global_buffer
      - .actual_access:  read_only
        .address_space:  global
        .offset:         80
        .size:           8
        .value_kind:     global_buffer
      - .actual_access:  read_only
        .address_space:  global
        .offset:         88
        .size:           8
        .value_kind:     global_buffer
      - .actual_access:  write_only
        .address_space:  global
        .offset:         96
        .size:           8
        .value_kind:     global_buffer
    .group_segment_fixed_size: 0
    .kernarg_segment_align: 8
    .kernarg_segment_size: 104
    .language:       OpenCL C
    .language_version:
      - 2
      - 0
    .max_flat_workgroup_size: 52
    .name:           fft_rtc_back_len1352_factors_2_13_13_4_wgs_52_tpt_52_halfLds_dp_op_CI_CI_sbrr_dirReg
    .private_segment_fixed_size: 536
    .sgpr_count:     50
    .sgpr_spill_count: 0
    .symbol:         fft_rtc_back_len1352_factors_2_13_13_4_wgs_52_tpt_52_halfLds_dp_op_CI_CI_sbrr_dirReg.kd
    .uniform_work_group_size: 1
    .uses_dynamic_stack: false
    .vgpr_count:     256
    .vgpr_spill_count: 143
    .wavefront_size: 32
    .workgroup_processor_mode: 1
amdhsa.target:   amdgcn-amd-amdhsa--gfx1100
amdhsa.version:
  - 1
  - 2
...

	.end_amdgpu_metadata
